;; amdgpu-corpus repo=ROCm/rocFFT kind=compiled arch=gfx906 opt=O3
	.text
	.amdgcn_target "amdgcn-amd-amdhsa--gfx906"
	.amdhsa_code_object_version 6
	.protected	fft_rtc_back_len208_factors_2_2_4_13_wgs_247_tpt_13_dim3_sp_ip_CI_sbcc_twdbase8_2step_dirReg ; -- Begin function fft_rtc_back_len208_factors_2_2_4_13_wgs_247_tpt_13_dim3_sp_ip_CI_sbcc_twdbase8_2step_dirReg
	.globl	fft_rtc_back_len208_factors_2_2_4_13_wgs_247_tpt_13_dim3_sp_ip_CI_sbcc_twdbase8_2step_dirReg
	.p2align	8
	.type	fft_rtc_back_len208_factors_2_2_4_13_wgs_247_tpt_13_dim3_sp_ip_CI_sbcc_twdbase8_2step_dirReg,@function
fft_rtc_back_len208_factors_2_2_4_13_wgs_247_tpt_13_dim3_sp_ip_CI_sbcc_twdbase8_2step_dirReg: ; @fft_rtc_back_len208_factors_2_2_4_13_wgs_247_tpt_13_dim3_sp_ip_CI_sbcc_twdbase8_2step_dirReg
; %bb.0:
	s_load_dwordx4 s[0:3], s[4:5], 0x10
	s_mov_b32 s7, 0
	s_mov_b64 s[20:21], 0
	s_waitcnt lgkmcnt(0)
	s_load_dwordx2 s[10:11], s[0:1], 0x8
	s_waitcnt lgkmcnt(0)
	s_add_u32 s8, s10, -1
	s_addc_u32 s9, s11, -1
	s_add_u32 s12, 0, 0x50d6f500
	s_addc_u32 s13, 0, 46
	s_mul_hi_u32 s15, s12, 0xffffffed
	s_add_i32 s13, s13, 0xd794330
	s_sub_i32 s15, s15, s12
	s_mul_i32 s18, s13, 0xffffffed
	s_mul_i32 s14, s12, 0xffffffed
	s_add_i32 s15, s15, s18
	s_mul_hi_u32 s16, s13, s14
	s_mul_i32 s17, s13, s14
	s_mul_i32 s19, s12, s15
	s_mul_hi_u32 s14, s12, s14
	s_mul_hi_u32 s18, s12, s15
	s_add_u32 s14, s14, s19
	s_addc_u32 s18, 0, s18
	s_add_u32 s14, s14, s17
	s_mul_hi_u32 s19, s13, s15
	s_addc_u32 s14, s18, s16
	s_addc_u32 s16, s19, 0
	s_mul_i32 s15, s13, s15
	s_add_u32 s14, s14, s15
	v_mov_b32_e32 v1, s14
	s_addc_u32 s15, 0, s16
	v_add_co_u32_e32 v1, vcc, s12, v1
	s_cmp_lg_u64 vcc, 0
	s_addc_u32 s12, s13, s15
	v_readfirstlane_b32 s15, v1
	s_mul_i32 s14, s8, s12
	s_mul_hi_u32 s16, s8, s15
	s_mul_hi_u32 s13, s8, s12
	s_add_u32 s14, s16, s14
	s_addc_u32 s13, 0, s13
	s_mul_hi_u32 s17, s9, s15
	s_mul_i32 s15, s9, s15
	s_add_u32 s14, s14, s15
	s_mul_hi_u32 s16, s9, s12
	s_addc_u32 s13, s13, s17
	s_addc_u32 s14, s16, 0
	s_mul_i32 s12, s9, s12
	s_add_u32 s12, s13, s12
	s_addc_u32 s13, 0, s14
	s_add_u32 s14, s12, 1
	s_addc_u32 s15, s13, 0
	s_add_u32 s16, s12, 2
	s_mul_i32 s18, s13, 19
	s_mul_hi_u32 s19, s12, 19
	s_addc_u32 s17, s13, 0
	s_add_i32 s19, s19, s18
	s_mul_i32 s18, s12, 19
	v_mov_b32_e32 v1, s18
	v_sub_co_u32_e32 v1, vcc, s8, v1
	s_cmp_lg_u64 vcc, 0
	s_subb_u32 s8, s9, s19
	v_subrev_co_u32_e32 v2, vcc, 19, v1
	s_cmp_lg_u64 vcc, 0
	s_subb_u32 s9, s8, 0
	v_readfirstlane_b32 s18, v2
	s_cmp_gt_u32 s18, 18
	s_cselect_b32 s18, -1, 0
	s_cmp_eq_u32 s9, 0
	s_cselect_b32 s9, s18, -1
	s_cmp_lg_u32 s9, 0
	s_cselect_b32 s9, s16, s14
	s_cselect_b32 s14, s17, s15
	v_readfirstlane_b32 s15, v1
	s_cmp_gt_u32 s15, 18
	s_cselect_b32 s15, -1, 0
	s_cmp_eq_u32 s8, 0
	s_cselect_b32 s8, s15, -1
	s_cmp_lg_u32 s8, 0
	s_cselect_b32 s9, s9, s12
	s_cselect_b32 s8, s14, s13
	s_add_u32 s18, s9, 1
	s_addc_u32 s19, s8, 0
	v_mov_b32_e32 v1, s18
	v_mov_b32_e32 v2, s19
	v_cmp_lt_u64_e32 vcc, s[6:7], v[1:2]
	s_cbranch_vccnz .LBB0_2
; %bb.1:
	v_cvt_f32_u32_e32 v1, s18
	s_sub_i32 s8, 0, s18
	s_mov_b32 s21, s7
	v_rcp_iflag_f32_e32 v1, v1
	v_mul_f32_e32 v1, 0x4f7ffffe, v1
	v_cvt_u32_f32_e32 v1, v1
	v_readfirstlane_b32 s9, v1
	s_mul_i32 s8, s8, s9
	s_mul_hi_u32 s8, s9, s8
	s_add_i32 s9, s9, s8
	s_mul_hi_u32 s8, s6, s9
	s_mul_i32 s12, s8, s18
	s_sub_i32 s12, s6, s12
	s_add_i32 s9, s8, 1
	s_sub_i32 s13, s12, s18
	s_cmp_ge_u32 s12, s18
	s_cselect_b32 s8, s9, s8
	s_cselect_b32 s12, s13, s12
	s_add_i32 s9, s8, 1
	s_cmp_ge_u32 s12, s18
	s_cselect_b32 s20, s9, s8
.LBB0_2:
	s_load_dwordx2 s[8:9], s[0:1], 0x10
	s_load_dwordx2 s[12:13], s[2:3], 0x8
	s_mov_b64 s[0:1], s[20:21]
	s_waitcnt lgkmcnt(0)
	v_mov_b32_e32 v1, s8
	v_mov_b32_e32 v2, s9
	v_cmp_lt_u64_e32 vcc, s[20:21], v[1:2]
	s_cbranch_vccnz .LBB0_4
; %bb.3:
	v_cvt_f32_u32_e32 v1, s8
	s_sub_i32 s0, 0, s8
	v_rcp_iflag_f32_e32 v1, v1
	v_mul_f32_e32 v1, 0x4f7ffffe, v1
	v_cvt_u32_f32_e32 v1, v1
	v_readfirstlane_b32 s1, v1
	s_mul_i32 s0, s0, s1
	s_mul_hi_u32 s0, s1, s0
	s_add_i32 s1, s1, s0
	s_mul_hi_u32 s0, s20, s1
	s_mul_i32 s0, s0, s8
	s_sub_i32 s0, s20, s0
	s_sub_i32 s1, s0, s8
	s_cmp_ge_u32 s0, s8
	s_cselect_b32 s0, s1, s0
	s_sub_i32 s1, s0, s8
	s_cmp_ge_u32 s0, s8
	s_cselect_b32 s0, s1, s0
.LBB0_4:
	s_mul_i32 s1, s8, s19
	s_mul_hi_u32 s16, s8, s18
	s_add_i32 s1, s16, s1
	s_mul_i32 s9, s9, s18
	s_mul_i32 s16, s8, s18
	s_load_dwordx2 s[14:15], s[4:5], 0x50
	s_add_i32 s17, s1, s9
	s_load_dwordx2 s[8:9], s[2:3], 0x0
	s_load_dwordx2 s[22:23], s[2:3], 0x10
	v_mov_b32_e32 v1, s16
	v_mov_b32_e32 v2, s17
	v_cmp_lt_u64_e32 vcc, s[6:7], v[1:2]
	s_mov_b64 s[24:25], 0
	s_cbranch_vccnz .LBB0_6
; %bb.5:
	v_cvt_f32_u32_e32 v1, s16
	s_sub_i32 s1, 0, s16
	v_rcp_iflag_f32_e32 v1, v1
	v_mul_f32_e32 v1, 0x4f7ffffe, v1
	v_cvt_u32_f32_e32 v1, v1
	v_readfirstlane_b32 s7, v1
	s_mul_i32 s1, s1, s7
	s_mul_hi_u32 s1, s7, s1
	s_add_i32 s7, s7, s1
	s_mul_hi_u32 s1, s6, s7
	s_mul_i32 s17, s1, s16
	s_sub_i32 s17, s6, s17
	s_add_i32 s7, s1, 1
	s_sub_i32 s21, s17, s16
	s_cmp_ge_u32 s17, s16
	s_cselect_b32 s1, s7, s1
	s_cselect_b32 s17, s21, s17
	s_add_i32 s7, s1, 1
	s_cmp_ge_u32 s17, s16
	s_cselect_b32 s24, s7, s1
.LBB0_6:
	s_mul_i32 s1, s20, s19
	s_mul_hi_u32 s7, s20, s18
	s_add_i32 s7, s7, s1
	s_mul_i32 s1, s20, s18
	s_sub_u32 s1, s6, s1
	s_subb_u32 s6, 0, s7
	s_mul_i32 s6, s6, 19
	s_mul_hi_u32 s7, s1, 19
	s_add_i32 s18, s7, s6
	s_mul_i32 s1, s1, 19
	s_load_dwordx2 s[2:3], s[2:3], 0x18
	s_mul_i32 s6, s12, s18
	s_mul_hi_u32 s7, s12, s1
	s_add_i32 s6, s7, s6
	s_mul_i32 s7, s13, s1
	s_waitcnt lgkmcnt(0)
	s_mul_i32 s19, s23, s0
	s_mul_hi_u32 s20, s22, s0
	s_add_i32 s6, s6, s7
	s_mul_i32 s7, s12, s1
	s_add_i32 s20, s20, s19
	s_mul_i32 s0, s22, s0
	s_add_u32 s0, s0, s7
	v_mul_u32_u24_e32 v1, 0xd7a, v0
	s_addc_u32 s7, s20, s6
	s_mul_i32 s3, s3, s24
	s_mul_hi_u32 s6, s2, s24
	v_lshrrev_b32_e32 v132, 16, v1
	s_add_i32 s3, s6, s3
	s_mul_i32 s2, s2, s24
	v_mul_lo_u16_e32 v1, 19, v132
	s_add_u32 s6, s2, s0
	v_sub_u16_e32 v134, v0, v1
	s_addc_u32 s7, s3, s7
	v_mov_b32_e32 v1, s18
	v_add_co_u32_e32 v24, vcc, s1, v134
	s_load_dwordx2 s[16:17], s[4:5], 0x0
	v_addc_co_u32_e32 v25, vcc, 0, v1, vcc
	s_add_u32 s0, s1, 19
	v_mov_b32_e32 v1, s10
	s_addc_u32 s1, s18, 0
	v_mov_b32_e32 v2, s11
	v_cmp_gt_u64_e32 vcc, s[0:1], v[1:2]
	v_cmp_le_u64_e64 s[0:1], s[0:1], v[1:2]
	s_and_b64 vcc, exec, vcc
	v_add_u32_e32 v38, 13, v132
	v_add_u32_e32 v39, 26, v132
	v_add_u32_e32 v40, 39, v132
	v_add_u32_e32 v41, 52, v132
	s_cbranch_vccnz .LBB0_8
; %bb.7:
	v_mad_u64_u32 v[1:2], s[2:3], s12, v134, 0
	v_mad_u64_u32 v[3:4], s[2:3], s8, v132, 0
	v_add_u32_e32 v8, 0x68, v132
	v_add_u32_e32 v133, 13, v132
	v_mad_u64_u32 v[5:6], s[2:3], s13, v134, v[2:3]
	v_mov_b32_e32 v2, v4
	v_mad_u64_u32 v[6:7], s[2:3], s9, v132, v[2:3]
	s_lshl_b64 s[2:3], s[6:7], 3
	s_add_u32 s18, s14, s2
	s_addc_u32 s2, s15, s3
	v_mov_b32_e32 v2, v5
	v_mov_b32_e32 v4, v6
	v_mov_b32_e32 v7, s2
	v_mad_u64_u32 v[5:6], s[2:3], s8, v8, 0
	v_lshlrev_b64 v[1:2], 3, v[1:2]
	v_add_u32_e32 v23, 26, v132
	v_add_co_u32_e32 v9, vcc, s18, v1
	v_addc_co_u32_e32 v10, vcc, v7, v2, vcc
	v_lshlrev_b64 v[1:2], 3, v[3:4]
	v_mov_b32_e32 v3, v6
	v_mad_u64_u32 v[3:4], s[2:3], s9, v8, v[3:4]
	v_mad_u64_u32 v[7:8], s[2:3], s8, v133, 0
	v_add_co_u32_e32 v34, vcc, v9, v1
	v_mov_b32_e32 v6, v3
	v_mov_b32_e32 v3, v8
	v_addc_co_u32_e32 v35, vcc, v10, v2, vcc
	v_lshlrev_b64 v[1:2], 3, v[5:6]
	v_mad_u64_u32 v[3:4], s[2:3], s9, v133, v[3:4]
	v_add_u32_e32 v6, 0x75, v132
	v_mad_u64_u32 v[4:5], s[2:3], s8, v6, 0
	v_mov_b32_e32 v8, v3
	v_add_co_u32_e32 v45, vcc, v9, v1
	v_mov_b32_e32 v3, v5
	v_mad_u64_u32 v[5:6], s[2:3], s9, v6, v[3:4]
	v_addc_co_u32_e32 v46, vcc, v10, v2, vcc
	v_lshlrev_b64 v[1:2], 3, v[7:8]
	v_mad_u64_u32 v[6:7], s[2:3], s8, v23, 0
	v_add_co_u32_e32 v47, vcc, v9, v1
	v_mov_b32_e32 v3, v7
	v_addc_co_u32_e32 v48, vcc, v10, v2, vcc
	v_lshlrev_b64 v[1:2], 3, v[4:5]
	v_mad_u64_u32 v[3:4], s[2:3], s9, v23, v[3:4]
	v_add_u32_e32 v8, 0x82, v132
	v_mad_u64_u32 v[4:5], s[2:3], s8, v8, 0
	v_add_co_u32_e32 v49, vcc, v9, v1
	v_mov_b32_e32 v7, v3
	v_mov_b32_e32 v3, v5
	v_addc_co_u32_e32 v50, vcc, v10, v2, vcc
	v_lshlrev_b64 v[1:2], 3, v[6:7]
	v_mad_u64_u32 v[5:6], s[2:3], s9, v8, v[3:4]
	v_add_u32_e32 v36, 39, v132
	v_mad_u64_u32 v[6:7], s[2:3], s8, v36, 0
	v_add_co_u32_e32 v51, vcc, v9, v1
	v_mov_b32_e32 v3, v7
	v_addc_co_u32_e32 v52, vcc, v10, v2, vcc
	v_lshlrev_b64 v[1:2], 3, v[4:5]
	v_mad_u64_u32 v[3:4], s[2:3], s9, v36, v[3:4]
	v_add_u32_e32 v8, 0x8f, v132
	v_mad_u64_u32 v[4:5], s[2:3], s8, v8, 0
	v_add_co_u32_e32 v53, vcc, v9, v1
	v_mov_b32_e32 v7, v3
	v_mov_b32_e32 v3, v5
	v_addc_co_u32_e32 v54, vcc, v10, v2, vcc
	v_lshlrev_b64 v[1:2], 3, v[6:7]
	v_mad_u64_u32 v[5:6], s[2:3], s9, v8, v[3:4]
	v_add_u32_e32 v43, 52, v132
	v_mad_u64_u32 v[6:7], s[2:3], s8, v43, 0
	v_add_co_u32_e32 v55, vcc, v9, v1
	v_mov_b32_e32 v3, v7
	v_addc_co_u32_e32 v56, vcc, v10, v2, vcc
	v_lshlrev_b64 v[1:2], 3, v[4:5]
	v_mad_u64_u32 v[3:4], s[2:3], s9, v43, v[3:4]
	v_add_u32_e32 v8, 0x9c, v132
	v_mad_u64_u32 v[4:5], s[2:3], s8, v8, 0
	v_add_co_u32_e32 v57, vcc, v9, v1
	v_mov_b32_e32 v7, v3
	v_mov_b32_e32 v3, v5
	v_addc_co_u32_e32 v58, vcc, v10, v2, vcc
	v_lshlrev_b64 v[1:2], 3, v[6:7]
	v_mad_u64_u32 v[5:6], s[2:3], s9, v8, v[3:4]
	v_add_u32_e32 v37, 0x41, v132
	v_mad_u64_u32 v[6:7], s[2:3], s8, v37, 0
	v_add_co_u32_e32 v59, vcc, v9, v1
	v_mov_b32_e32 v3, v7
	v_addc_co_u32_e32 v60, vcc, v10, v2, vcc
	v_lshlrev_b64 v[1:2], 3, v[4:5]
	v_mad_u64_u32 v[3:4], s[2:3], s9, v37, v[3:4]
	v_add_u32_e32 v8, 0xa9, v132
	v_mad_u64_u32 v[4:5], s[2:3], s8, v8, 0
	v_add_co_u32_e32 v61, vcc, v9, v1
	v_mov_b32_e32 v7, v3
	v_mov_b32_e32 v3, v5
	v_addc_co_u32_e32 v62, vcc, v10, v2, vcc
	v_lshlrev_b64 v[1:2], 3, v[6:7]
	v_mad_u64_u32 v[5:6], s[2:3], s9, v8, v[3:4]
	v_add_u32_e32 v42, 0x4e, v132
	v_mad_u64_u32 v[6:7], s[2:3], s8, v42, 0
	v_add_co_u32_e32 v63, vcc, v9, v1
	v_mov_b32_e32 v3, v7
	v_addc_co_u32_e32 v64, vcc, v10, v2, vcc
	v_lshlrev_b64 v[1:2], 3, v[4:5]
	v_mad_u64_u32 v[3:4], s[2:3], s9, v42, v[3:4]
	v_add_u32_e32 v8, 0xb6, v132
	v_mad_u64_u32 v[4:5], s[2:3], s8, v8, 0
	v_add_co_u32_e32 v65, vcc, v9, v1
	v_mov_b32_e32 v7, v3
	v_mov_b32_e32 v3, v5
	v_addc_co_u32_e32 v66, vcc, v10, v2, vcc
	v_lshlrev_b64 v[1:2], 3, v[6:7]
	v_mad_u64_u32 v[5:6], s[2:3], s9, v8, v[3:4]
	v_add_u32_e32 v44, 0x5b, v132
	v_mad_u64_u32 v[6:7], s[2:3], s8, v44, 0
	v_add_co_u32_e32 v67, vcc, v9, v1
	v_mov_b32_e32 v3, v7
	v_addc_co_u32_e32 v68, vcc, v10, v2, vcc
	v_lshlrev_b64 v[1:2], 3, v[4:5]
	v_mad_u64_u32 v[3:4], s[2:3], s9, v44, v[3:4]
	v_add_u32_e32 v8, 0xc3, v132
	v_mad_u64_u32 v[4:5], s[2:3], s8, v8, 0
	v_add_co_u32_e32 v69, vcc, v9, v1
	v_mov_b32_e32 v7, v3
	v_mov_b32_e32 v3, v5
	v_addc_co_u32_e32 v70, vcc, v10, v2, vcc
	v_lshlrev_b64 v[1:2], 3, v[6:7]
	v_mad_u64_u32 v[5:6], s[2:3], s9, v8, v[3:4]
	v_add_co_u32_e32 v71, vcc, v9, v1
	v_addc_co_u32_e32 v72, vcc, v10, v2, vcc
	v_lshlrev_b64 v[1:2], 3, v[4:5]
	v_add_co_u32_e32 v73, vcc, v9, v1
	v_addc_co_u32_e32 v74, vcc, v10, v2, vcc
	global_load_dwordx2 v[5:6], v[34:35], off
	global_load_dwordx2 v[7:8], v[45:46], off
	;; [unrolled: 1-line block ×15, first 2 shown]
                                        ; kill: killed $vgpr69 killed $vgpr70
                                        ; kill: killed $vgpr55 killed $vgpr56
                                        ; kill: killed $vgpr71 killed $vgpr72
                                        ; kill: killed $vgpr49 killed $vgpr50
                                        ; kill: killed $vgpr65 killed $vgpr66
                                        ; kill: killed $vgpr51 killed $vgpr52
                                        ; kill: killed $vgpr67 killed $vgpr68
                                        ; kill: killed $vgpr45 killed $vgpr46
                                        ; kill: killed $vgpr61 killed $vgpr62
                                        ; kill: killed $vgpr47 killed $vgpr48
                                        ; kill: killed $vgpr63 killed $vgpr64
                                        ; kill: killed $vgpr57 killed $vgpr58
                                        ; kill: killed $vgpr34 killed $vgpr35
                                        ; kill: killed $vgpr59 killed $vgpr60
                                        ; kill: killed $vgpr53 killed $vgpr54
	global_load_dwordx2 v[34:35], v[73:74], off
	s_cbranch_execz .LBB0_9
	s_branch .LBB0_14
.LBB0_8:
                                        ; implicit-def: $vgpr9
                                        ; implicit-def: $vgpr17
                                        ; implicit-def: $vgpr34
                                        ; implicit-def: $vgpr28
                                        ; implicit-def: $vgpr32
                                        ; implicit-def: $vgpr30
                                        ; implicit-def: $vgpr19
                                        ; implicit-def: $vgpr133
                                        ; implicit-def: $vgpr23
                                        ; implicit-def: $vgpr36
                                        ; implicit-def: $vgpr43
                                        ; implicit-def: $vgpr37
                                        ; implicit-def: $vgpr42
                                        ; implicit-def: $vgpr44
                                        ; implicit-def: $vgpr26
                                        ; implicit-def: $vgpr21
                                        ; implicit-def: $vgpr11
                                        ; implicit-def: $vgpr15
                                        ; implicit-def: $vgpr13
                                        ; implicit-def: $vgpr3
                                        ; implicit-def: $vgpr1
                                        ; implicit-def: $vgpr7
                                        ; implicit-def: $vgpr5
.LBB0_9:
	v_cmp_le_u64_e32 vcc, s[10:11], v[24:25]
                                        ; implicit-def: $vgpr133
                                        ; implicit-def: $vgpr23
                                        ; implicit-def: $vgpr36
                                        ; implicit-def: $vgpr43
                                        ; implicit-def: $vgpr37
                                        ; implicit-def: $vgpr42
                                        ; implicit-def: $vgpr44
	s_and_saveexec_b64 s[2:3], vcc
	s_xor_b64 s[2:3], exec, s[2:3]
; %bb.10:
	v_add_u32_e32 v133, 13, v132
	v_add_u32_e32 v23, 26, v132
	;; [unrolled: 1-line block ×7, first 2 shown]
                                        ; implicit-def: $vgpr38
                                        ; implicit-def: $vgpr39
                                        ; implicit-def: $vgpr40
                                        ; implicit-def: $vgpr41
; %bb.11:
	s_or_saveexec_b64 s[2:3], s[2:3]
                                        ; implicit-def: $vgpr9
                                        ; implicit-def: $vgpr17
                                        ; implicit-def: $vgpr34
                                        ; implicit-def: $vgpr28
                                        ; implicit-def: $vgpr32
                                        ; implicit-def: $vgpr30
                                        ; implicit-def: $vgpr19
                                        ; implicit-def: $vgpr26
                                        ; implicit-def: $vgpr21
                                        ; implicit-def: $vgpr11
                                        ; implicit-def: $vgpr15
                                        ; implicit-def: $vgpr13
                                        ; implicit-def: $vgpr3
                                        ; implicit-def: $vgpr1
                                        ; implicit-def: $vgpr7
                                        ; implicit-def: $vgpr5
	s_xor_b64 exec, exec, s[2:3]
	s_cbranch_execz .LBB0_13
; %bb.12:
	s_waitcnt vmcnt(13)
	v_mad_u64_u32 v[1:2], s[18:19], s12, v134, 0
	s_waitcnt vmcnt(12)
	v_mad_u64_u32 v[3:4], s[18:19], s8, v132, 0
	v_add_u32_e32 v8, 0x68, v132
	s_waitcnt vmcnt(7)
	v_add_u32_e32 v22, 0x82, v132
	v_mad_u64_u32 v[5:6], s[18:19], s13, v134, v[2:3]
	v_mov_b32_e32 v2, v4
	v_mad_u64_u32 v[6:7], s[18:19], s9, v132, v[2:3]
	s_lshl_b64 s[18:19], s[6:7], 3
	s_add_u32 s20, s14, s18
	s_addc_u32 s18, s15, s19
	v_mov_b32_e32 v2, v5
	v_mov_b32_e32 v4, v6
	;; [unrolled: 1-line block ×3, first 2 shown]
	v_mad_u64_u32 v[5:6], s[18:19], s8, v8, 0
	v_lshlrev_b64 v[1:2], 3, v[1:2]
	v_mad_u64_u32 v[15:16], s[18:19], s8, v39, 0
	v_add_co_u32_e32 v51, vcc, s20, v1
	v_addc_co_u32_e32 v52, vcc, v7, v2, vcc
	v_lshlrev_b64 v[1:2], 3, v[3:4]
	v_mov_b32_e32 v3, v6
	v_mad_u64_u32 v[3:4], s[18:19], s9, v8, v[3:4]
	v_mad_u64_u32 v[7:8], s[18:19], s8, v38, 0
	v_add_co_u32_e32 v9, vcc, v51, v1
	v_mov_b32_e32 v6, v3
	v_mov_b32_e32 v3, v8
	v_addc_co_u32_e32 v10, vcc, v52, v2, vcc
	v_lshlrev_b64 v[1:2], 3, v[5:6]
	v_mad_u64_u32 v[3:4], s[18:19], s9, v38, v[3:4]
	v_add_u32_e32 v6, 0x75, v132
	v_mad_u64_u32 v[4:5], s[18:19], s8, v6, 0
	v_mov_b32_e32 v8, v3
	v_add_co_u32_e32 v11, vcc, v51, v1
	v_mov_b32_e32 v3, v5
	v_mad_u64_u32 v[5:6], s[18:19], s9, v6, v[3:4]
	v_addc_co_u32_e32 v12, vcc, v52, v2, vcc
	v_lshlrev_b64 v[1:2], 3, v[7:8]
	s_waitcnt vmcnt(6)
	v_mad_u64_u32 v[26:27], s[18:19], s8, v41, 0
	v_add_co_u32_e32 v13, vcc, v51, v1
	v_addc_co_u32_e32 v14, vcc, v52, v2, vcc
	v_lshlrev_b64 v[1:2], 3, v[4:5]
	v_add_u32_e32 v23, 0x9c, v132
	s_waitcnt vmcnt(4)
	v_add_co_u32_e32 v17, vcc, v51, v1
	v_mov_b32_e32 v1, v16
	v_mad_u64_u32 v[19:20], s[18:19], s9, v39, v[1:2]
	v_mad_u64_u32 v[20:21], s[18:19], s8, v22, 0
	v_addc_co_u32_e32 v18, vcc, v52, v2, vcc
	global_load_dwordx2 v[5:6], v[9:10], off
	global_load_dwordx2 v[7:8], v[11:12], off
	;; [unrolled: 1-line block ×4, first 2 shown]
	v_mov_b32_e32 v11, v21
	v_mad_u64_u32 v[11:12], s[18:19], s9, v22, v[11:12]
	v_mad_u64_u32 v[12:13], s[18:19], s8, v40, 0
	v_mov_b32_e32 v16, v19
	v_mov_b32_e32 v21, v11
	;; [unrolled: 1-line block ×3, first 2 shown]
	v_lshlrev_b64 v[9:10], 3, v[15:16]
	v_mad_u64_u32 v[13:14], s[18:19], s9, v40, v[11:12]
	v_add_u32_e32 v16, 0x8f, v132
	v_mad_u64_u32 v[14:15], s[18:19], s8, v16, 0
	v_add_co_u32_e32 v17, vcc, v51, v9
	v_addc_co_u32_e32 v18, vcc, v52, v10, vcc
	v_lshlrev_b64 v[9:10], 3, v[20:21]
	v_mov_b32_e32 v11, v15
	v_add_co_u32_e32 v19, vcc, v51, v9
	v_addc_co_u32_e32 v20, vcc, v52, v10, vcc
	v_lshlrev_b64 v[9:10], 3, v[12:13]
	v_mad_u64_u32 v[11:12], s[18:19], s9, v16, v[11:12]
	v_add_co_u32_e32 v21, vcc, v51, v9
	v_mov_b32_e32 v15, v11
	v_addc_co_u32_e32 v22, vcc, v52, v10, vcc
	v_lshlrev_b64 v[9:10], 3, v[14:15]
	v_add_u32_e32 v37, 0x41, v132
	s_waitcnt vmcnt(5)
	v_add_co_u32_e32 v28, vcc, v51, v9
	v_mov_b32_e32 v9, v27
	v_mad_u64_u32 v[30:31], s[18:19], s9, v41, v[9:10]
	v_mad_u64_u32 v[31:32], s[18:19], s8, v23, 0
	v_addc_co_u32_e32 v29, vcc, v52, v10, vcc
	global_load_dwordx2 v[13:14], v[17:18], off
	global_load_dwordx2 v[15:16], v[19:20], off
	;; [unrolled: 1-line block ×4, first 2 shown]
	v_mov_b32_e32 v19, v32
	v_mad_u64_u32 v[19:20], s[18:19], s9, v23, v[19:20]
	v_mad_u64_u32 v[20:21], s[18:19], s8, v37, 0
	v_mov_b32_e32 v27, v30
	v_mov_b32_e32 v32, v19
	;; [unrolled: 1-line block ×3, first 2 shown]
	v_lshlrev_b64 v[17:18], 3, v[26:27]
	v_mad_u64_u32 v[21:22], s[18:19], s9, v37, v[19:20]
	v_add_u32_e32 v26, 0xa9, v132
	v_mad_u64_u32 v[22:23], s[18:19], s8, v26, 0
	v_add_co_u32_e32 v28, vcc, v51, v17
	v_addc_co_u32_e32 v29, vcc, v52, v18, vcc
	v_lshlrev_b64 v[17:18], 3, v[31:32]
	v_mov_b32_e32 v19, v23
	v_add_co_u32_e32 v30, vcc, v51, v17
	v_addc_co_u32_e32 v31, vcc, v52, v18, vcc
	v_lshlrev_b64 v[17:18], 3, v[20:21]
	v_mad_u64_u32 v[19:20], s[18:19], s9, v26, v[19:20]
	v_add_u32_e32 v42, 0x4e, v132
	s_waitcnt vmcnt(8)
	v_mad_u64_u32 v[34:35], s[18:19], s8, v42, 0
	v_add_co_u32_e32 v32, vcc, v51, v17
	v_mov_b32_e32 v23, v19
	v_addc_co_u32_e32 v33, vcc, v52, v18, vcc
	v_lshlrev_b64 v[17:18], 3, v[22:23]
	v_mov_b32_e32 v133, v38
	v_add_co_u32_e32 v43, vcc, v51, v17
	v_mov_b32_e32 v17, v35
	v_mad_u64_u32 v[35:36], s[18:19], s9, v42, v[17:18]
	v_add_u32_e32 v36, 0xb6, v132
	v_mad_u64_u32 v[45:46], s[18:19], s8, v36, 0
	v_addc_co_u32_e32 v44, vcc, v52, v18, vcc
	v_mov_b32_e32 v23, v46
	global_load_dwordx2 v[21:22], v[28:29], off
	global_load_dwordx2 v[26:27], v[30:31], off
	;; [unrolled: 1-line block ×4, first 2 shown]
	v_mad_u64_u32 v[30:31], s[18:19], s9, v36, v[23:24]
	v_add_u32_e32 v44, 0x5b, v132
	v_mad_u64_u32 v[31:32], s[18:19], s8, v44, 0
	v_lshlrev_b64 v[28:29], 3, v[34:35]
	v_mov_b32_e32 v46, v30
	v_mov_b32_e32 v23, v32
	v_mad_u64_u32 v[32:33], s[18:19], s9, v44, v[23:24]
	v_add_u32_e32 v30, 0xc3, v132
	v_mad_u64_u32 v[33:34], s[18:19], s8, v30, 0
	v_add_co_u32_e32 v47, vcc, v51, v28
	v_addc_co_u32_e32 v48, vcc, v52, v29, vcc
	v_lshlrev_b64 v[28:29], 3, v[45:46]
	v_mov_b32_e32 v23, v34
	v_add_co_u32_e32 v45, vcc, v51, v28
	v_addc_co_u32_e32 v46, vcc, v52, v29, vcc
	v_lshlrev_b64 v[28:29], 3, v[31:32]
	v_mad_u64_u32 v[30:31], s[18:19], s9, v30, v[23:24]
	v_add_co_u32_e32 v49, vcc, v51, v28
	v_mov_b32_e32 v34, v30
	v_addc_co_u32_e32 v50, vcc, v52, v29, vcc
	v_lshlrev_b64 v[28:29], 3, v[33:34]
	v_mov_b32_e32 v23, v39
	v_add_co_u32_e32 v51, vcc, v51, v28
	v_addc_co_u32_e32 v52, vcc, v52, v29, vcc
	global_load_dwordx2 v[30:31], v[47:48], off
	global_load_dwordx2 v[32:33], v[45:46], off
	;; [unrolled: 1-line block ×4, first 2 shown]
	v_mov_b32_e32 v36, v40
	v_mov_b32_e32 v43, v41
.LBB0_13:
	s_or_b64 exec, exec, s[2:3]
.LBB0_14:
	s_waitcnt vmcnt(12)
	v_sub_f32_e32 v3, v1, v3
	v_sub_f32_e32 v4, v2, v4
	;; [unrolled: 1-line block ×4, first 2 shown]
	v_fma_f32 v38, v1, 2.0, -v3
	v_fma_f32 v39, v2, 2.0, -v4
	v_mul_u32_u24_e32 v2, 0x130, v132
	v_lshlrev_b32_e32 v1, 3, v134
	v_fma_f32 v5, v5, 2.0, -v7
	v_fma_f32 v6, v6, 2.0, -v8
	v_add3_u32 v2, 0, v2, v1
	ds_write2_b64 v2, v[5:6], v[7:8] offset1:19
	v_mul_i32_i24_e32 v2, 0x130, v133
	v_add3_u32 v2, 0, v2, v1
	s_waitcnt vmcnt(10)
	v_sub_f32_e32 v15, v13, v15
	v_sub_f32_e32 v16, v14, v16
	ds_write2_b64 v2, v[38:39], v[3:4] offset1:19
	v_mul_i32_i24_e32 v2, 0x130, v23
	v_fma_f32 v13, v13, 2.0, -v15
	v_fma_f32 v14, v14, 2.0, -v16
	v_add3_u32 v2, 0, v2, v1
	s_waitcnt vmcnt(8)
	v_sub_f32_e32 v9, v11, v9
	v_sub_f32_e32 v10, v12, v10
	ds_write2_b64 v2, v[13:14], v[15:16] offset1:19
	v_mul_i32_i24_e32 v2, 0x130, v36
	v_fma_f32 v11, v11, 2.0, -v9
	v_fma_f32 v12, v12, 2.0, -v10
	;; [unrolled: 8-line block ×6, first 2 shown]
	v_add3_u32 v2, 0, v2, v1
	v_and_b32_e32 v22, 1, v133
	ds_write2_b64 v2, v[28:29], v[34:35] offset1:19
	v_lshlrev_b32_e32 v2, 3, v22
	s_waitcnt lgkmcnt(0)
	s_barrier
	v_and_b32_e32 v35, 1, v36
	global_load_dwordx2 v[14:15], v2, s[16:17]
	v_and_b32_e32 v33, 1, v132
	v_lshlrev_b32_e32 v4, 3, v35
	v_and_b32_e32 v49, 1, v37
	v_lshlrev_b32_e32 v3, 3, v33
	v_lshlrev_b32_e32 v2, 3, v49
	global_load_dwordx2 v[16:17], v4, s[16:17]
	global_load_dwordx2 v[18:19], v2, s[16:17]
	;; [unrolled: 1-line block ×3, first 2 shown]
	v_and_b32_e32 v50, 1, v44
	v_lshlrev_b32_e32 v2, 3, v50
	global_load_dwordx2 v[26:27], v2, s[16:17]
	v_mul_u32_u24_e32 v2, 0x98, v132
	v_add3_u32 v32, 0, v2, v1
	v_add_u32_e32 v2, 0x3d80, v32
	v_mul_i32_i24_e32 v6, 0x98, v133
	ds_read2_b64 v[2:5], v2 offset0:8 offset1:255
	v_add3_u32 v34, 0, v6, v1
	v_mul_i32_i24_e32 v6, 0x98, v23
	v_mul_i32_i24_e32 v10, 0x98, v36
	v_add3_u32 v51, 0, v6, v1
	v_add_u32_e32 v6, 0x4d00, v32
	v_add3_u32 v52, 0, v10, v1
	v_mul_i32_i24_e32 v10, 0x98, v43
	ds_read2_b64 v[6:9], v6 offset0:6 offset1:253
	v_add3_u32 v53, 0, v10, v1
	v_add_u32_e32 v10, 0x5c00, v32
	ds_read2_b32 v[30:31], v10 offset0:40 offset1:41
	v_mul_i32_i24_e32 v10, 0x98, v37
	v_add_u32_e32 v54, 0x6440, v32
	v_add3_u32 v45, 0, v10, v1
	ds_read2_b64 v[10:13], v54 offset0:3 offset1:250
	v_mul_i32_i24_e32 v38, 0x98, v42
	v_add3_u32 v47, 0, v38, v1
	ds_read_b64 v[28:29], v32
	ds_read_b64 v[38:39], v52
	;; [unrolled: 1-line block ×5, first 2 shown]
	s_movk_i32 s2, 0x3ffc
	s_waitcnt vmcnt(4) lgkmcnt(8)
	v_mul_f32_e32 v55, v15, v5
	v_fmac_f32_e32 v55, v14, v4
	v_mul_f32_e32 v4, v15, v4
	v_fma_f32 v14, v14, v5, -v4
	s_waitcnt vmcnt(3) lgkmcnt(7)
	v_mul_f32_e32 v4, v17, v8
	v_mul_f32_e32 v57, v17, v9
	s_waitcnt vmcnt(1)
	v_mul_f32_e32 v15, v21, v3
	v_fmac_f32_e32 v15, v20, v2
	v_mul_f32_e32 v2, v21, v2
	v_fma_f32 v17, v16, v9, -v4
	v_mul_f32_e32 v4, v21, v6
	v_fma_f32 v56, v20, v3, -v2
	v_mul_i32_i24_e32 v2, 0x98, v44
	v_fma_f32 v58, v20, v7, -v4
	s_waitcnt lgkmcnt(5)
	v_mul_f32_e32 v4, v10, v19
	v_add3_u32 v2, 0, v2, v1
	v_fmac_f32_e32 v57, v16, v8
	v_mul_f32_e32 v16, v21, v7
	v_fma_f32 v60, v11, v18, -v4
	v_mul_f32_e32 v4, v12, v21
	ds_read_b64 v[2:3], v2
	v_fmac_f32_e32 v16, v20, v6
	v_fma_f32 v62, v13, v20, -v4
	ds_read_b64 v[4:5], v51
	ds_read_b64 v[6:7], v34
	ds_read_b64 v[8:9], v32 offset:29640
	v_mul_f32_e32 v59, v11, v19
	v_mul_f32_e32 v61, v13, v21
	;; [unrolled: 1-line block ×3, first 2 shown]
	v_fmac_f32_e32 v59, v10, v18
	v_fmac_f32_e32 v61, v12, v20
	;; [unrolled: 1-line block ×3, first 2 shown]
	v_mul_f32_e32 v10, v21, v30
	s_waitcnt vmcnt(0) lgkmcnt(0)
	v_mul_f32_e32 v64, v9, v27
	v_sub_f32_e32 v13, v7, v14
	v_sub_f32_e32 v14, v4, v16
	;; [unrolled: 1-line block ×3, first 2 shown]
	v_fma_f32 v21, v31, v20, -v10
	v_fmac_f32_e32 v64, v8, v26
	v_mul_f32_e32 v8, v8, v27
	v_fma_f32 v18, v38, 2.0, -v16
	v_sub_f32_e32 v20, v40, v63
	v_sub_f32_e32 v38, v47, v61
	v_fma_f32 v65, v9, v26, -v8
	v_fma_f32 v26, v40, 2.0, -v20
	v_fma_f32 v40, v47, 2.0, -v38
	v_lshlrev_b32_e32 v47, 1, v132
	v_and_or_b32 v47, v47, 28, v33
	v_sub_f32_e32 v8, v28, v15
	v_sub_f32_e32 v9, v29, v56
	v_mul_u32_u24_e32 v47, 0x98, v47
	v_fma_f32 v10, v28, 2.0, -v8
	v_fma_f32 v11, v29, 2.0, -v9
	v_add3_u32 v47, 0, v47, v1
	s_barrier
	ds_write2_b64 v47, v[10:11], v[8:9] offset1:38
	v_lshlrev_b32_e32 v8, 1, v133
	v_and_or_b32 v8, v8, s2, v22
	v_sub_f32_e32 v12, v6, v55
	v_mul_u32_u24_e32 v8, 0x98, v8
	v_fma_f32 v6, v6, 2.0, -v12
	v_fma_f32 v7, v7, 2.0, -v13
	v_add3_u32 v8, 0, v8, v1
	ds_write2_b64 v8, v[6:7], v[12:13] offset1:38
	v_lshlrev_b32_e32 v6, 1, v23
	v_and_or_b32 v6, v6, s2, v33
	v_sub_f32_e32 v15, v5, v58
	v_mul_u32_u24_e32 v6, 0x98, v6
	v_fma_f32 v4, v4, 2.0, -v14
	v_fma_f32 v5, v5, 2.0, -v15
	v_add3_u32 v6, 0, v6, v1
	ds_write2_b64 v6, v[4:5], v[14:15] offset1:38
	v_lshlrev_b32_e32 v4, 1, v36
	v_and_or_b32 v4, v4, s2, v35
	v_sub_f32_e32 v17, v39, v17
	v_mul_u32_u24_e32 v4, 0x98, v4
	v_fma_f32 v19, v39, 2.0, -v17
	v_add3_u32 v4, 0, v4, v1
	ds_write2_b64 v4, v[18:19], v[16:17] offset1:38
	v_lshlrev_b32_e32 v4, 1, v43
	v_and_or_b32 v4, v4, s2, v33
	v_sub_f32_e32 v21, v41, v21
	v_mul_u32_u24_e32 v4, 0x98, v4
	v_fma_f32 v27, v41, 2.0, -v21
	v_add3_u32 v4, 0, v4, v1
	ds_write2_b64 v4, v[26:27], v[20:21] offset1:38
	v_lshlrev_b32_e32 v4, 1, v37
	v_and_or_b32 v4, v4, s2, v49
	v_sub_f32_e32 v28, v45, v59
	v_sub_f32_e32 v29, v46, v60
	v_mul_u32_u24_e32 v4, 0x98, v4
	v_fma_f32 v30, v45, 2.0, -v28
	v_fma_f32 v31, v46, 2.0, -v29
	v_add3_u32 v4, 0, v4, v1
	ds_write2_b64 v4, v[30:31], v[28:29] offset1:38
	v_lshlrev_b32_e32 v4, 1, v42
	v_and_or_b32 v4, v4, s2, v33
	v_sub_f32_e32 v39, v48, v62
	v_mul_u32_u24_e32 v4, 0x98, v4
	v_fma_f32 v41, v48, 2.0, -v39
	v_add3_u32 v4, 0, v4, v1
	ds_write2_b64 v4, v[40:41], v[38:39] offset1:38
	v_lshlrev_b32_e32 v4, 1, v44
	v_and_or_b32 v4, v4, s2, v50
	v_sub_f32_e32 v45, v2, v64
	v_sub_f32_e32 v46, v3, v65
	v_mul_u32_u24_e32 v4, 0x98, v4
	v_fma_f32 v2, v2, 2.0, -v45
	v_fma_f32 v3, v3, 2.0, -v46
	v_add3_u32 v4, 0, v4, v1
	v_and_b32_e32 v22, 3, v133
	ds_write2_b64 v4, v[2:3], v[45:46] offset1:38
	v_mul_u32_u24_e32 v2, 3, v22
	v_lshlrev_b32_e32 v14, 3, v2
	v_and_b32_e32 v33, 3, v23
	s_waitcnt lgkmcnt(0)
	s_barrier
	global_load_dwordx4 v[2:5], v14, s[16:17] offset:16
	v_mul_u32_u24_e32 v6, 3, v33
	v_lshlrev_b32_e32 v15, 3, v6
	global_load_dwordx4 v[6:9], v15, s[16:17] offset:16
	v_and_b32_e32 v10, 3, v132
	v_mul_u32_u24_e32 v10, 3, v10
	v_lshlrev_b32_e32 v16, 3, v10
	global_load_dwordx4 v[10:13], v16, s[16:17] offset:16
	global_load_dwordx2 v[30:31], v16, s[16:17] offset:32
	global_load_dwordx2 v[41:42], v14, s[16:17] offset:32
	global_load_dwordx2 v[43:44], v15, s[16:17] offset:32
	v_and_b32_e32 v35, 3, v36
	v_mul_u32_u24_e32 v14, 3, v35
	v_lshlrev_b32_e32 v18, 3, v14
	global_load_dwordx4 v[14:17], v18, s[16:17] offset:16
	global_load_dwordx2 v[45:46], v18, s[16:17] offset:32
	v_add_u32_e32 v26, 0x3600, v32
	v_add_u32_e32 v18, 0x2680, v32
	;; [unrolled: 1-line block ×3, first 2 shown]
	ds_read_b64 v[47:48], v32
	ds_read2_b64 v[18:21], v18 offset0:3 offset1:250
	ds_read2_b64 v[26:29], v26 offset0:1 offset1:248
	;; [unrolled: 1-line block ×3, first 2 shown]
	v_add_u32_e32 v49, 0x54c0, v32
	s_movk_i32 s2, 0x7ff0
	s_waitcnt vmcnt(7) lgkmcnt(2)
	v_mul_f32_e32 v50, v3, v19
	v_mul_f32_e32 v3, v3, v18
	v_fmac_f32_e32 v50, v2, v18
	v_fma_f32 v55, v2, v19, -v3
	s_waitcnt lgkmcnt(0)
	v_mul_f32_e32 v56, v38, v5
	v_mul_f32_e32 v2, v37, v5
	ds_read_b64 v[18:19], v53
	v_fmac_f32_e32 v56, v37, v4
	v_fma_f32 v37, v38, v4, -v2
	s_waitcnt vmcnt(6)
	v_mul_f32_e32 v2, v20, v7
	v_fma_f32 v57, v21, v6, -v2
	ds_read2_b64 v[2:5], v49 offset0:5 offset1:252
	v_mul_f32_e32 v38, v21, v7
	v_fmac_f32_e32 v38, v20, v6
	v_mul_f32_e32 v49, v40, v9
	v_mul_f32_e32 v6, v39, v9
	v_fmac_f32_e32 v49, v39, v8
	v_fma_f32 v39, v40, v8, -v6
	ds_read2_b64 v[6:9], v54 offset0:3 offset1:250
	ds_read_b64 v[20:21], v52
	s_waitcnt vmcnt(5) lgkmcnt(3)
	v_mul_f32_e32 v40, v11, v19
	v_mul_f32_e32 v11, v11, v18
	v_fmac_f32_e32 v40, v10, v18
	v_fma_f32 v52, v10, v19, -v11
	v_mul_f32_e32 v53, v13, v29
	v_mul_f32_e32 v10, v13, v28
	v_fmac_f32_e32 v53, v12, v28
	v_fma_f32 v28, v12, v29, -v10
	s_waitcnt vmcnt(4) lgkmcnt(2)
	v_mul_f32_e32 v29, v31, v5
	v_fmac_f32_e32 v29, v30, v4
	v_mul_f32_e32 v4, v31, v4
	ds_read_b64 v[10:11], v51
	ds_read_b64 v[12:13], v34
	ds_read_b64 v[18:19], v32 offset:29640
	v_fma_f32 v4, v30, v5, -v4
	s_waitcnt vmcnt(3) lgkmcnt(4)
	v_mul_f32_e32 v30, v7, v42
	v_mul_f32_e32 v5, v6, v42
	v_fmac_f32_e32 v30, v6, v41
	v_fma_f32 v31, v7, v41, -v5
	s_waitcnt vmcnt(2)
	v_mul_f32_e32 v41, v9, v44
	v_mul_f32_e32 v5, v8, v44
	v_fmac_f32_e32 v41, v8, v43
	v_fma_f32 v42, v9, v43, -v5
	s_waitcnt vmcnt(1)
	v_mul_f32_e32 v43, v27, v15
	v_mul_f32_e32 v5, v26, v15
	v_fmac_f32_e32 v43, v26, v14
	v_fma_f32 v26, v27, v14, -v5
	v_mul_f32_e32 v27, v3, v17
	v_fmac_f32_e32 v27, v2, v16
	v_mul_f32_e32 v2, v2, v17
	v_sub_f32_e32 v7, v40, v29
	s_waitcnt lgkmcnt(2)
	v_sub_f32_e32 v29, v11, v39
	v_sub_f32_e32 v39, v57, v42
	v_fma_f32 v44, v3, v16, -v2
	s_waitcnt vmcnt(0) lgkmcnt(0)
	v_mul_f32_e32 v51, v19, v46
	v_mul_f32_e32 v2, v18, v46
	v_sub_f32_e32 v16, v55, v31
	v_fma_f32 v31, v11, 2.0, -v29
	v_fma_f32 v11, v57, 2.0, -v39
	v_fmac_f32_e32 v51, v18, v45
	v_fma_f32 v45, v19, v45, -v2
	v_sub_f32_e32 v9, v48, v28
	v_fma_f32 v2, v40, 2.0, -v7
	v_sub_f32_e32 v28, v10, v49
	v_sub_f32_e32 v40, v38, v41
	;; [unrolled: 1-line block ×6, first 2 shown]
	v_fma_f32 v30, v10, 2.0, -v28
	v_fma_f32 v10, v38, 2.0, -v40
	v_fma_f32 v38, v31, 2.0, -v11
	v_add_f32_e32 v39, v28, v39
	v_sub_f32_e32 v31, v43, v51
	v_fma_f32 v5, v47, 2.0, -v8
	v_fma_f32 v6, v48, 2.0, -v9
	v_fma_f32 v3, v52, 2.0, -v14
	v_fma_f32 v41, v28, 2.0, -v39
	v_fma_f32 v28, v43, 2.0, -v31
	v_lshl_or_b32 v43, v132, 2, v132
	v_sub_f32_e32 v2, v5, v2
	v_sub_f32_e32 v3, v6, v3
	v_and_b32_e32 v43, 51, v43
	v_fma_f32 v4, v5, 2.0, -v2
	v_fma_f32 v5, v6, 2.0, -v3
	v_add_f32_e32 v6, v8, v14
	v_sub_f32_e32 v7, v9, v7
	v_mul_u32_u24_e32 v43, 0x98, v43
	v_fma_f32 v8, v8, 2.0, -v6
	v_fma_f32 v9, v9, 2.0, -v7
	v_add3_u32 v43, 0, v43, v1
	v_sub_f32_e32 v18, v12, v56
	v_sub_f32_e32 v19, v13, v37
	s_barrier
	ds_write2_b64 v43, v[4:5], v[8:9] offset1:76
	ds_write2_b64 v43, v[2:3], v[6:7] offset0:152 offset1:228
	v_lshlrev_b32_e32 v2, 2, v133
	v_fma_f32 v14, v12, 2.0, -v18
	v_fma_f32 v15, v13, 2.0, -v19
	;; [unrolled: 1-line block ×4, first 2 shown]
	v_and_or_b32 v2, v2, s2, v22
	v_sub_f32_e32 v12, v14, v12
	v_sub_f32_e32 v13, v15, v13
	v_add_f32_e32 v16, v18, v16
	v_sub_f32_e32 v17, v19, v17
	v_mul_u32_u24_e32 v2, 0x98, v2
	v_fma_f32 v14, v14, 2.0, -v12
	v_fma_f32 v15, v15, 2.0, -v13
	;; [unrolled: 1-line block ×4, first 2 shown]
	v_add3_u32 v2, 0, v2, v1
	ds_write2_b64 v2, v[14:15], v[18:19] offset1:76
	ds_write2_b64 v2, v[12:13], v[16:17] offset0:152 offset1:228
	v_lshlrev_b32_e32 v2, 2, v23
	v_and_or_b32 v2, v2, s2, v33
	v_sub_f32_e32 v10, v30, v10
	v_sub_f32_e32 v40, v29, v40
	v_mul_u32_u24_e32 v2, 0x98, v2
	v_fma_f32 v37, v30, 2.0, -v10
	v_fma_f32 v42, v29, 2.0, -v40
	v_add3_u32 v2, 0, v2, v1
	v_sub_f32_e32 v27, v20, v27
	v_sub_f32_e32 v44, v21, v44
	;; [unrolled: 1-line block ×3, first 2 shown]
	ds_write2_b64 v2, v[37:38], v[41:42] offset1:76
	ds_write2_b64 v2, v[10:11], v[39:40] offset0:152 offset1:228
	v_lshlrev_b32_e32 v2, 2, v36
	v_fma_f32 v20, v20, 2.0, -v27
	v_fma_f32 v21, v21, 2.0, -v44
	;; [unrolled: 1-line block ×3, first 2 shown]
	v_and_or_b32 v2, v2, s2, v35
	v_sub_f32_e32 v28, v20, v28
	v_sub_f32_e32 v29, v21, v26
	v_add_f32_e32 v30, v27, v30
	v_sub_f32_e32 v31, v44, v31
	v_mul_u32_u24_e32 v2, 0x98, v2
	v_fma_f32 v20, v20, 2.0, -v28
	v_fma_f32 v21, v21, 2.0, -v29
	;; [unrolled: 1-line block ×4, first 2 shown]
	v_add3_u32 v1, 0, v2, v1
	ds_write2_b64 v1, v[20:21], v[26:27] offset1:76
	ds_write2_b64 v1, v[28:29], v[30:31] offset0:152 offset1:228
	s_waitcnt lgkmcnt(0)
	s_barrier
	ds_read_b64 v[1:2], v32
	ds_read_b64 v[54:55], v32 offset:2432
	ds_read_b64 v[52:53], v32 offset:4864
	;; [unrolled: 1-line block ×12, first 2 shown]
	v_cmp_gt_u32_e64 s[2:3], 57, v0
                                        ; implicit-def: $vgpr39
                                        ; implicit-def: $vgpr41
                                        ; implicit-def: $vgpr43
                                        ; implicit-def: $vgpr45
                                        ; implicit-def: $vgpr33
                                        ; implicit-def: $vgpr35
                                        ; implicit-def: $vgpr37
                                        ; implicit-def: $vgpr47
                                        ; implicit-def: $vgpr49
                                        ; implicit-def: $vgpr51
	s_and_saveexec_b64 s[18:19], s[2:3]
	s_cbranch_execz .LBB0_16
; %bb.15:
	ds_read_b64 v[26:27], v34
	ds_read_b64 v[28:29], v32 offset:4408
	ds_read_b64 v[30:31], v32 offset:6840
	ds_read_b64 v[38:39], v32 offset:9272
	ds_read_b64 v[40:41], v32 offset:11704
	ds_read_b64 v[42:43], v32 offset:14136
	ds_read_b64 v[44:45], v32 offset:16568
	ds_read_b64 v[50:51], v32 offset:19000
	ds_read_b64 v[48:49], v32 offset:21432
	ds_read_b64 v[46:47], v32 offset:23864
	ds_read_b64 v[36:37], v32 offset:26296
	ds_read_b64 v[34:35], v32 offset:28728
	ds_read_b64 v[32:33], v32 offset:31160
.LBB0_16:
	s_or_b64 exec, exec, s[18:19]
	v_mul_u32_u24_e32 v0, 12, v132
	v_lshlrev_b32_e32 v0, 3, v0
	global_load_dwordx4 v[56:59], v0, s[16:17] offset:112
	global_load_dwordx4 v[60:63], v0, s[16:17] offset:128
	;; [unrolled: 1-line block ×6, first 2 shown]
	s_mov_b32 s19, 0x3f62ad3f
	s_mov_b32 s21, 0x3f116cb1
	;; [unrolled: 1-line block ×6, first 2 shown]
	s_load_dwordx2 s[4:5], s[4:5], 0x8
	v_or_b32_e32 v135, 16, v132
	v_or_b32_e32 v136, 32, v132
	;; [unrolled: 1-line block ×12, first 2 shown]
	s_andn2_b64 vcc, exec, s[0:1]
	s_waitcnt vmcnt(5) lgkmcnt(0)
	v_mul_f32_e32 v0, v57, v55
	v_mul_f32_e32 v23, v57, v54
	;; [unrolled: 1-line block ×4, first 2 shown]
	v_fmac_f32_e32 v0, v56, v54
	s_waitcnt vmcnt(0)
	v_mul_f32_e32 v88, v6, v77
	v_mul_f32_e32 v77, v5, v77
	;; [unrolled: 1-line block ×3, first 2 shown]
	v_fma_f32 v23, v56, v55, -v23
	v_mul_f32_e32 v80, v61, v22
	v_mul_f32_e32 v61, v61, v21
	;; [unrolled: 1-line block ×7, first 2 shown]
	v_fmac_f32_e32 v57, v58, v52
	v_fma_f32 v52, v58, v53, -v59
	v_fmac_f32_e32 v88, v5, v76
	v_fma_f32 v5, v6, v76, -v77
	v_fmac_f32_e32 v89, v3, v78
	v_add_f32_e32 v3, v0, v1
	v_add_f32_e32 v6, v23, v2
	v_mul_f32_e32 v81, v63, v20
	v_mul_f32_e32 v63, v63, v19
	v_fmac_f32_e32 v80, v60, v21
	v_fma_f32 v21, v60, v22, -v61
	v_fmac_f32_e32 v85, v70, v11
	v_fma_f32 v11, v70, v12, -v71
	v_fmac_f32_e32 v87, v7, v74
	v_fma_f32 v7, v8, v74, -v75
	v_add_f32_e32 v8, v0, v89
	v_sub_f32_e32 v12, v0, v89
	v_add_f32_e32 v0, v3, v57
	v_add_f32_e32 v3, v6, v52
	v_mul_f32_e32 v82, v65, v18
	v_mul_f32_e32 v65, v65, v17
	v_fmac_f32_e32 v81, v62, v19
	v_fma_f32 v19, v62, v20, -v63
	v_add_f32_e32 v0, v0, v80
	v_add_f32_e32 v3, v3, v21
	v_mul_f32_e32 v83, v67, v16
	v_mul_f32_e32 v67, v67, v15
	v_fmac_f32_e32 v82, v64, v17
	v_fma_f32 v17, v64, v18, -v65
	;; [unrolled: 6-line block ×3, first 2 shown]
	v_add_f32_e32 v0, v0, v82
	v_add_f32_e32 v3, v3, v17
	v_fmac_f32_e32 v84, v68, v13
	v_fma_f32 v13, v68, v14, -v69
	v_add_f32_e32 v0, v0, v83
	v_add_f32_e32 v3, v3, v15
	v_mul_f32_e32 v86, v10, v73
	v_mul_f32_e32 v73, v9, v73
	v_add_f32_e32 v0, v0, v84
	v_add_f32_e32 v3, v3, v13
	v_fmac_f32_e32 v86, v9, v72
	v_fma_f32 v9, v10, v72, -v73
	v_fma_f32 v4, v4, v78, -v79
	v_add_f32_e32 v0, v0, v85
	v_add_f32_e32 v3, v3, v11
	;; [unrolled: 1-line block ×5, first 2 shown]
	v_mul_f32_e32 v16, 0x3f62ad3f, v10
	v_add_f32_e32 v0, v0, v87
	v_add_f32_e32 v3, v3, v7
	v_sub_f32_e32 v14, v23, v4
	v_mov_b32_e32 v20, v16
	v_fmac_f32_e32 v16, 0xbeedf032, v12
	v_add_f32_e32 v0, v0, v88
	v_add_f32_e32 v22, v3, v5
	v_mul_f32_e32 v23, 0x3f116cb1, v10
	v_mul_f32_e32 v56, 0x3df6dbef, v10
	;; [unrolled: 1-line block ×6, first 2 shown]
	v_add_f32_e32 v3, v0, v89
	v_add_f32_e32 v0, v22, v4
	;; [unrolled: 1-line block ×3, first 2 shown]
	v_mul_f32_e32 v16, 0xbf52af12, v14
	v_mov_b32_e32 v53, v23
	v_mul_f32_e32 v54, 0xbf7e222b, v14
	v_mov_b32_e32 v58, v56
	;; [unrolled: 2-line block ×5, first 2 shown]
	v_fmac_f32_e32 v20, 0x3eedf032, v12
	v_fmac_f32_e32 v53, 0x3f52af12, v12
	;; [unrolled: 1-line block ×9, first 2 shown]
	v_mov_b32_e32 v67, v14
	v_fmac_f32_e32 v68, 0x3e750f2a, v12
	v_fmac_f32_e32 v10, 0xbe750f2a, v12
	v_fma_f32 v18, v8, s19, -v6
	v_fmac_f32_e32 v6, 0x3f62ad3f, v8
	v_add_f32_e32 v20, v20, v2
	v_fma_f32 v22, v8, s21, -v16
	v_fmac_f32_e32 v16, 0x3f116cb1, v8
	v_add_f32_e32 v53, v53, v2
	v_add_f32_e32 v23, v23, v2
	v_fma_f32 v55, v8, s18, -v54
	v_fmac_f32_e32 v54, 0x3df6dbef, v8
	v_add_f32_e32 v58, v58, v2
	;; [unrolled: 4-line block ×4, first 2 shown]
	v_add_f32_e32 v65, v65, v2
	v_fmac_f32_e32 v67, 0xbf788fa5, v8
	v_add_f32_e32 v68, v68, v2
	v_fma_f32 v8, v8, s23, -v14
	v_add_f32_e32 v2, v10, v2
	v_add_f32_e32 v10, v52, v5
	v_sub_f32_e32 v5, v52, v5
	v_add_f32_e32 v6, v6, v1
	v_add_f32_e32 v18, v18, v1
	;; [unrolled: 1-line block ×13, first 2 shown]
	v_mul_f32_e32 v14, 0xbf52af12, v5
	v_fma_f32 v52, v8, s21, -v14
	v_fmac_f32_e32 v14, 0x3f116cb1, v8
	v_sub_f32_e32 v12, v57, v88
	v_add_f32_e32 v6, v14, v6
	v_mul_f32_e32 v14, 0x3f116cb1, v10
	v_mov_b32_e32 v57, v14
	v_fmac_f32_e32 v14, 0xbf52af12, v12
	v_add_f32_e32 v4, v14, v4
	v_mul_f32_e32 v14, 0xbf6f5d39, v5
	v_add_f32_e32 v18, v52, v18
	v_fma_f32 v52, v8, s20, -v14
	v_fmac_f32_e32 v14, 0xbeb58ec6, v8
	v_fmac_f32_e32 v57, 0x3f52af12, v12
	v_add_f32_e32 v14, v14, v16
	v_mul_f32_e32 v16, 0xbeb58ec6, v10
	v_add_f32_e32 v20, v57, v20
	v_mov_b32_e32 v57, v16
	v_fmac_f32_e32 v16, 0xbf6f5d39, v12
	v_add_f32_e32 v16, v16, v23
	v_mul_f32_e32 v23, 0xbe750f2a, v5
	v_add_f32_e32 v22, v52, v22
	v_fma_f32 v52, v8, s23, -v23
	v_fmac_f32_e32 v23, 0xbf788fa5, v8
	v_fmac_f32_e32 v57, 0x3f6f5d39, v12
	v_add_f32_e32 v23, v23, v54
	v_mul_f32_e32 v54, 0xbf788fa5, v10
	v_add_f32_e32 v53, v57, v53
	v_mov_b32_e32 v57, v54
	v_fmac_f32_e32 v57, 0x3e750f2a, v12
	v_add_f32_e32 v52, v52, v55
	v_fmac_f32_e32 v54, 0xbe750f2a, v12
	v_mul_f32_e32 v55, 0x3f29c268, v5
	v_add_f32_e32 v57, v57, v58
	v_add_f32_e32 v54, v54, v56
	v_fma_f32 v56, v8, s22, -v55
	v_fmac_f32_e32 v55, 0xbf3f9e67, v8
	v_mul_f32_e32 v58, 0xbf3f9e67, v10
	v_add_f32_e32 v55, v55, v59
	v_mov_b32_e32 v59, v58
	v_fmac_f32_e32 v59, 0xbf29c268, v12
	v_add_f32_e32 v56, v56, v60
	v_fmac_f32_e32 v58, 0x3f29c268, v12
	v_mul_f32_e32 v60, 0x3f7e222b, v5
	v_add_f32_e32 v59, v59, v62
	v_add_f32_e32 v58, v58, v61
	v_fma_f32 v61, v8, s18, -v60
	v_fmac_f32_e32 v60, 0x3df6dbef, v8
	v_mul_f32_e32 v62, 0x3df6dbef, v10
	v_mul_f32_e32 v5, 0x3eedf032, v5
	v_add_f32_e32 v60, v60, v63
	v_mov_b32_e32 v63, v62
	v_add_f32_e32 v61, v61, v64
	v_fmac_f32_e32 v62, 0x3f7e222b, v12
	v_mov_b32_e32 v64, v5
	v_mul_f32_e32 v10, 0x3f62ad3f, v10
	v_add_f32_e32 v62, v62, v65
	v_fmac_f32_e32 v64, 0x3f62ad3f, v8
	v_mov_b32_e32 v65, v10
	v_fma_f32 v5, v8, s19, -v5
	v_add_f32_e32 v8, v21, v7
	v_sub_f32_e32 v7, v21, v7
	v_fmac_f32_e32 v63, 0xbf7e222b, v12
	v_fmac_f32_e32 v65, 0xbeedf032, v12
	v_add_f32_e32 v1, v5, v1
	v_fmac_f32_e32 v10, 0x3eedf032, v12
	v_add_f32_e32 v5, v80, v87
	v_mul_f32_e32 v12, 0xbf7e222b, v7
	v_fma_f32 v21, v5, s18, -v12
	v_fmac_f32_e32 v12, 0x3df6dbef, v5
	v_add_f32_e32 v2, v10, v2
	v_sub_f32_e32 v10, v80, v87
	v_add_f32_e32 v6, v12, v6
	v_mul_f32_e32 v12, 0x3df6dbef, v8
	v_add_f32_e32 v63, v63, v66
	v_mov_b32_e32 v66, v12
	v_fmac_f32_e32 v12, 0xbf7e222b, v10
	v_add_f32_e32 v4, v12, v4
	v_mul_f32_e32 v12, 0xbe750f2a, v7
	v_add_f32_e32 v18, v21, v18
	v_fma_f32 v21, v5, s23, -v12
	v_fmac_f32_e32 v12, 0xbf788fa5, v5
	v_fmac_f32_e32 v66, 0x3f7e222b, v10
	v_add_f32_e32 v12, v12, v14
	v_mul_f32_e32 v14, 0xbf788fa5, v8
	v_add_f32_e32 v20, v66, v20
	v_mov_b32_e32 v66, v14
	v_fmac_f32_e32 v14, 0xbe750f2a, v10
	v_add_f32_e32 v14, v14, v16
	v_mul_f32_e32 v16, 0x3f6f5d39, v7
	v_add_f32_e32 v21, v21, v22
	v_fma_f32 v22, v5, s20, -v16
	v_fmac_f32_e32 v16, 0xbeb58ec6, v5
	v_fmac_f32_e32 v66, 0x3e750f2a, v10
	v_add_f32_e32 v16, v16, v23
	v_mul_f32_e32 v23, 0xbeb58ec6, v8
	v_add_f32_e32 v53, v66, v53
	v_mov_b32_e32 v66, v23
	v_add_f32_e32 v22, v22, v52
	v_fmac_f32_e32 v23, 0x3f6f5d39, v10
	v_mul_f32_e32 v52, 0x3eedf032, v7
	v_add_f32_e32 v23, v23, v54
	v_fma_f32 v54, v5, s19, -v52
	v_fmac_f32_e32 v52, 0x3f62ad3f, v5
	v_fmac_f32_e32 v66, 0xbf6f5d39, v10
	v_add_f32_e32 v52, v52, v55
	v_mul_f32_e32 v55, 0x3f62ad3f, v8
	v_add_f32_e32 v57, v66, v57
	v_mov_b32_e32 v66, v55
	v_add_f32_e32 v54, v54, v56
	v_fmac_f32_e32 v55, 0x3eedf032, v10
	v_mul_f32_e32 v56, 0xbf52af12, v7
	v_add_f32_e32 v55, v55, v58
	v_fma_f32 v58, v5, s21, -v56
	v_fmac_f32_e32 v56, 0x3f116cb1, v5
	v_fmac_f32_e32 v66, 0xbeedf032, v10
	v_add_f32_e32 v56, v56, v60
	v_mul_f32_e32 v60, 0x3f116cb1, v8
	v_mul_f32_e32 v7, 0xbf29c268, v7
	v_add_f32_e32 v59, v66, v59
	v_mov_b32_e32 v66, v60
	v_add_f32_e32 v58, v58, v61
	v_fmac_f32_e32 v60, 0xbf52af12, v10
	v_mov_b32_e32 v61, v7
	v_mul_f32_e32 v8, 0xbf3f9e67, v8
	v_add_f32_e32 v60, v60, v62
	v_fmac_f32_e32 v61, 0xbf3f9e67, v5
	v_mov_b32_e32 v62, v8
	v_fma_f32 v5, v5, s22, -v7
	v_add_f32_e32 v7, v19, v9
	v_sub_f32_e32 v9, v19, v9
	v_fmac_f32_e32 v66, 0x3f52af12, v10
	v_fmac_f32_e32 v62, 0x3f29c268, v10
	v_add_f32_e32 v1, v5, v1
	v_fmac_f32_e32 v8, 0xbf29c268, v10
	v_add_f32_e32 v5, v81, v86
	v_mul_f32_e32 v10, 0xbf6f5d39, v9
	v_fma_f32 v19, v5, s20, -v10
	v_fmac_f32_e32 v10, 0xbeb58ec6, v5
	v_add_f32_e32 v64, v64, v67
	v_add_f32_e32 v2, v8, v2
	v_sub_f32_e32 v8, v81, v86
	v_add_f32_e32 v6, v10, v6
	v_mul_f32_e32 v10, 0xbeb58ec6, v7
	v_add_f32_e32 v61, v61, v64
	v_mov_b32_e32 v64, v10
	v_fmac_f32_e32 v10, 0xbf6f5d39, v8
	v_add_f32_e32 v4, v10, v4
	v_mul_f32_e32 v10, 0x3f29c268, v9
	v_add_f32_e32 v18, v19, v18
	v_fma_f32 v19, v5, s22, -v10
	v_fmac_f32_e32 v10, 0xbf3f9e67, v5
	v_fmac_f32_e32 v64, 0x3f6f5d39, v8
	v_add_f32_e32 v10, v10, v12
	v_mul_f32_e32 v12, 0xbf3f9e67, v7
	v_add_f32_e32 v20, v64, v20
	v_mov_b32_e32 v64, v12
	v_fmac_f32_e32 v12, 0x3f29c268, v8
	v_add_f32_e32 v12, v12, v14
	v_mul_f32_e32 v14, 0x3eedf032, v9
	v_add_f32_e32 v19, v19, v21
	v_fma_f32 v21, v5, s19, -v14
	v_fmac_f32_e32 v14, 0x3f62ad3f, v5
	v_fmac_f32_e32 v64, 0xbf29c268, v8
	v_add_f32_e32 v14, v14, v16
	v_mul_f32_e32 v16, 0x3f62ad3f, v7
	v_add_f32_e32 v53, v64, v53
	v_mov_b32_e32 v64, v16
	v_add_f32_e32 v21, v21, v22
	v_fmac_f32_e32 v16, 0x3eedf032, v8
	v_mul_f32_e32 v22, 0xbf7e222b, v9
	v_add_f32_e32 v16, v16, v23
	v_fma_f32 v23, v5, s18, -v22
	v_fmac_f32_e32 v22, 0x3df6dbef, v5
	v_fmac_f32_e32 v64, 0xbeedf032, v8
	v_add_f32_e32 v22, v22, v52
	v_mul_f32_e32 v52, 0x3df6dbef, v7
	v_add_f32_e32 v57, v64, v57
	v_mov_b32_e32 v64, v52
	v_add_f32_e32 v23, v23, v54
	v_fmac_f32_e32 v52, 0xbf7e222b, v8
	v_mul_f32_e32 v54, 0x3e750f2a, v9
	v_add_f32_e32 v52, v52, v55
	v_fma_f32 v55, v5, s23, -v54
	v_fmac_f32_e32 v54, 0xbf788fa5, v5
	v_fmac_f32_e32 v64, 0x3f7e222b, v8
	v_add_f32_e32 v54, v54, v56
	v_mul_f32_e32 v56, 0xbf788fa5, v7
	v_mul_f32_e32 v9, 0x3f52af12, v9
	v_add_f32_e32 v59, v64, v59
	v_mov_b32_e32 v64, v56
	v_add_f32_e32 v55, v55, v58
	v_fmac_f32_e32 v56, 0x3e750f2a, v8
	v_mov_b32_e32 v58, v9
	v_mul_f32_e32 v7, 0x3f116cb1, v7
	v_add_f32_e32 v56, v56, v60
	v_fmac_f32_e32 v58, 0x3f116cb1, v5
	v_mov_b32_e32 v60, v7
	v_fma_f32 v5, v5, s21, -v9
	v_fmac_f32_e32 v7, 0x3f52af12, v8
	v_sub_f32_e32 v9, v17, v11
	v_add_f32_e32 v1, v5, v1
	v_add_f32_e32 v2, v7, v2
	;; [unrolled: 1-line block ×4, first 2 shown]
	v_mul_f32_e32 v11, 0xbf29c268, v9
	v_fma_f32 v17, v5, s22, -v11
	v_fmac_f32_e32 v11, 0xbf3f9e67, v5
	v_fmac_f32_e32 v64, 0xbe750f2a, v8
	v_fmac_f32_e32 v60, 0xbf52af12, v8
	v_sub_f32_e32 v8, v82, v85
	v_add_f32_e32 v6, v11, v6
	v_mul_f32_e32 v11, 0xbf3f9e67, v7
	v_add_f32_e32 v58, v58, v61
	v_mov_b32_e32 v61, v11
	v_fmac_f32_e32 v11, 0xbf29c268, v8
	v_add_f32_e32 v4, v11, v4
	v_mul_f32_e32 v11, 0x3f7e222b, v9
	v_add_f32_e32 v17, v17, v18
	v_fma_f32 v18, v5, s18, -v11
	v_fmac_f32_e32 v11, 0x3df6dbef, v5
	v_fmac_f32_e32 v61, 0x3f29c268, v8
	v_add_f32_e32 v10, v11, v10
	v_mul_f32_e32 v11, 0x3df6dbef, v7
	v_add_f32_e32 v20, v61, v20
	v_mov_b32_e32 v61, v11
	v_fmac_f32_e32 v11, 0x3f7e222b, v8
	v_add_f32_e32 v11, v11, v12
	v_mul_f32_e32 v12, 0xbf52af12, v9
	v_add_f32_e32 v18, v18, v19
	v_fma_f32 v19, v5, s21, -v12
	v_fmac_f32_e32 v12, 0x3f116cb1, v5
	v_fmac_f32_e32 v61, 0xbf7e222b, v8
	;; [unrolled: 11-line block ×3, first 2 shown]
	v_add_f32_e32 v16, v16, v22
	v_mul_f32_e32 v22, 0xbf788fa5, v7
	v_add_f32_e32 v57, v53, v57
	v_mov_b32_e32 v53, v22
	v_fmac_f32_e32 v22, 0x3e750f2a, v8
	v_fmac_f32_e32 v53, 0xbe750f2a, v8
	v_add_f32_e32 v52, v22, v52
	v_mul_f32_e32 v22, 0x3eedf032, v9
	v_add_f32_e32 v59, v53, v59
	v_add_f32_e32 v21, v21, v23
	v_fma_f32 v23, v5, s19, -v22
	v_fmac_f32_e32 v22, 0x3f62ad3f, v5
	v_mul_f32_e32 v53, 0x3f62ad3f, v7
	v_add_f32_e32 v22, v22, v54
	v_mov_b32_e32 v54, v53
	v_fmac_f32_e32 v53, 0x3eedf032, v8
	v_mul_f32_e32 v9, 0xbf6f5d39, v9
	v_add_f32_e32 v23, v23, v55
	v_add_f32_e32 v55, v53, v56
	v_mov_b32_e32 v53, v9
	v_add_f32_e32 v65, v65, v68
	v_fmac_f32_e32 v53, 0xbeb58ec6, v5
	v_mul_f32_e32 v7, 0xbeb58ec6, v7
	v_add_f32_e32 v62, v62, v65
	v_add_f32_e32 v56, v53, v58
	v_mov_b32_e32 v53, v7
	v_add_f32_e32 v60, v60, v62
	v_fmac_f32_e32 v53, 0x3f6f5d39, v8
	v_fma_f32 v5, v5, s20, -v9
	v_sub_f32_e32 v65, v15, v13
	v_add_f32_e32 v63, v66, v63
	v_add_f32_e32 v58, v53, v60
	;; [unrolled: 1-line block ×4, first 2 shown]
	v_mul_f32_e32 v1, 0xbe750f2a, v65
	v_add_f32_e32 v63, v64, v63
	v_fmac_f32_e32 v54, 0xbeedf032, v8
	v_fma_f32 v5, v62, s23, -v1
	v_add_f32_e32 v54, v54, v63
	v_add_f32_e32 v63, v15, v13
	v_fmac_f32_e32 v1, 0xbf788fa5, v62
	v_add_f32_e32 v53, v5, v17
	v_mul_lo_u32 v5, v24, v132
	v_sub_f32_e32 v64, v83, v84
	v_add_f32_e32 v66, v1, v6
	v_mul_f32_e32 v1, 0xbf788fa5, v63
	v_mov_b32_e32 v6, v1
	v_fmac_f32_e32 v1, 0xbe750f2a, v64
	v_add_f32_e32 v115, v1, v4
	v_mov_b32_e32 v1, 3
	v_fmac_f32_e32 v7, 0xbf6f5d39, v8
	v_fmac_f32_e32 v6, 0x3e750f2a, v64
	v_lshlrev_b32_sdwa v8, v1, v5 dst_sel:DWORD dst_unused:UNUSED_PAD src0_sel:DWORD src1_sel:BYTE_0
	v_add_f32_e32 v2, v7, v2
	v_add_f32_e32 v20, v6, v20
	v_lshlrev_b32_sdwa v9, v1, v5 dst_sel:DWORD dst_unused:UNUSED_PAD src0_sel:DWORD src1_sel:BYTE_1
	global_load_dwordx2 v[4:5], v8, s[4:5]
	global_load_dwordx2 v[6:7], v9, s[4:5] offset:2048
	v_mul_f32_e32 v8, 0x3eedf032, v65
	v_fma_f32 v9, v62, s19, -v8
	v_fmac_f32_e32 v8, 0x3f62ad3f, v62
	v_add_f32_e32 v67, v8, v10
	v_mul_f32_e32 v8, 0x3f62ad3f, v63
	v_mov_b32_e32 v10, v8
	v_fmac_f32_e32 v8, 0x3eedf032, v64
	v_add_f32_e32 v119, v8, v11
	v_mul_f32_e32 v8, 0xbf29c268, v65
	v_add_f32_e32 v114, v9, v18
	v_fma_f32 v9, v62, s22, -v8
	v_fmac_f32_e32 v8, 0xbf3f9e67, v62
	v_fmac_f32_e32 v10, 0xbeedf032, v64
	v_add_f32_e32 v113, v8, v12
	v_mul_f32_e32 v8, 0xbf3f9e67, v63
	v_add_f32_e32 v61, v10, v61
	v_mov_b32_e32 v10, v8
	v_fmac_f32_e32 v10, 0x3f29c268, v64
	v_add_f32_e32 v120, v10, v57
	v_fmac_f32_e32 v8, 0xbf29c268, v64
	v_mul_lo_u32 v10, v24, v135
	v_add_f32_e32 v118, v8, v14
	v_mul_f32_e32 v8, 0x3f52af12, v65
	v_add_f32_e32 v117, v9, v19
	v_fma_f32 v9, v62, s21, -v8
	v_fmac_f32_e32 v8, 0x3f116cb1, v62
	v_mul_f32_e32 v116, 0x3f116cb1, v63
	v_add_f32_e32 v122, v8, v16
	v_mov_b32_e32 v8, v116
	v_fmac_f32_e32 v8, 0xbf52af12, v64
	v_lshlrev_b32_sdwa v13, v1, v10 dst_sel:DWORD dst_unused:UNUSED_PAD src0_sel:DWORD src1_sel:BYTE_0
	v_add_f32_e32 v123, v8, v59
	v_add_f32_e32 v121, v9, v21
	v_lshlrev_b32_sdwa v14, v1, v10 dst_sel:DWORD dst_unused:UNUSED_PAD src0_sel:DWORD src1_sel:BYTE_1
	global_load_dwordx2 v[8:9], v13, s[4:5]
	global_load_dwordx2 v[10:11], v14, s[4:5] offset:2048
	v_mul_lo_u32 v13, v24, v136
	v_mul_f32_e32 v12, 0xbf6f5d39, v65
	v_fma_f32 v16, v62, s20, -v12
	v_fmac_f32_e32 v12, 0xbeb58ec6, v62
	v_add_f32_e32 v124, v12, v22
	v_mul_lo_u32 v22, v24, v137
	v_lshlrev_b32_sdwa v18, v1, v13 dst_sel:DWORD dst_unused:UNUSED_PAD src0_sel:DWORD src1_sel:BYTE_0
	v_mul_f32_e32 v21, 0xbeb58ec6, v63
	v_lshlrev_b32_sdwa v19, v1, v13 dst_sel:DWORD dst_unused:UNUSED_PAD src0_sel:DWORD src1_sel:BYTE_1
	global_load_dwordx2 v[12:13], v18, s[4:5]
	global_load_dwordx2 v[14:15], v19, s[4:5] offset:2048
	v_mov_b32_e32 v17, v21
	v_fmac_f32_e32 v17, 0x3f6f5d39, v64
	v_add_f32_e32 v144, v16, v23
	v_lshlrev_b32_sdwa v23, v1, v22 dst_sel:DWORD dst_unused:UNUSED_PAD src0_sel:DWORD src1_sel:BYTE_0
	v_add_f32_e32 v125, v17, v54
	v_lshlrev_b32_sdwa v22, v1, v22 dst_sel:DWORD dst_unused:UNUSED_PAD src0_sel:DWORD src1_sel:BYTE_1
	global_load_dwordx2 v[16:17], v23, s[4:5]
	global_load_dwordx2 v[18:19], v22, s[4:5] offset:2048
	v_fmac_f32_e32 v21, 0xbf6f5d39, v64
	v_add_f32_e32 v145, v21, v55
	v_mul_f32_e32 v21, 0x3f7e222b, v65
	v_mov_b32_e32 v22, v21
	v_fma_f32 v21, v62, s18, -v21
	v_fmac_f32_e32 v22, 0x3df6dbef, v62
	v_mul_lo_u32 v23, v24, v138
	v_add_f32_e32 v149, v21, v60
	v_mul_lo_u32 v21, v24, v139
	v_add_f32_e32 v126, v22, v56
	v_mul_f32_e32 v22, 0x3df6dbef, v63
	v_mov_b32_e32 v54, v22
	v_fmac_f32_e32 v54, 0xbf7e222b, v64
	v_fmac_f32_e32 v22, 0x3f7e222b, v64
	v_add_f32_e32 v127, v54, v58
	v_lshlrev_b32_sdwa v54, v1, v23 dst_sel:DWORD dst_unused:UNUSED_PAD src0_sel:DWORD src1_sel:BYTE_0
	v_add_f32_e32 v150, v22, v2
	v_lshlrev_b32_sdwa v22, v1, v21 dst_sel:DWORD dst_unused:UNUSED_PAD src0_sel:DWORD src1_sel:BYTE_0
	v_lshlrev_b32_sdwa v21, v1, v21 dst_sel:DWORD dst_unused:UNUSED_PAD src0_sel:DWORD src1_sel:BYTE_1
	v_lshlrev_b32_sdwa v23, v1, v23 dst_sel:DWORD dst_unused:UNUSED_PAD src0_sel:DWORD src1_sel:BYTE_1
	v_mul_lo_u32 v55, v24, v140
	global_load_dwordx2 v[128:129], v54, s[4:5]
	global_load_dwordx2 v[130:131], v23, s[4:5] offset:2048
	global_load_dwordx2 v[151:152], v22, s[4:5]
	global_load_dwordx2 v[153:154], v21, s[4:5] offset:2048
	v_mul_lo_u32 v21, v24, v141
	v_fmac_f32_e32 v116, 0x3f52af12, v64
	v_lshlrev_b32_sdwa v22, v1, v55 dst_sel:DWORD dst_unused:UNUSED_PAD src0_sel:DWORD src1_sel:BYTE_1
	v_add_f32_e32 v52, v116, v52
	s_waitcnt vmcnt(10)
	v_mul_f32_e32 v2, v5, v7
	v_fma_f32 v2, v4, v6, -v2
	v_mul_f32_e32 v4, v4, v7
	v_lshlrev_b32_sdwa v7, v1, v55 dst_sel:DWORD dst_unused:UNUSED_PAD src0_sel:DWORD src1_sel:BYTE_0
	v_fmac_f32_e32 v4, v5, v6
	v_lshlrev_b32_sdwa v5, v1, v21 dst_sel:DWORD dst_unused:UNUSED_PAD src0_sel:DWORD src1_sel:BYTE_0
	v_lshlrev_b32_sdwa v6, v1, v21 dst_sel:DWORD dst_unused:UNUSED_PAD src0_sel:DWORD src1_sel:BYTE_1
	v_mul_lo_u32 v21, v24, v142
	global_load_dwordx2 v[155:156], v7, s[4:5]
	global_load_dwordx2 v[157:158], v22, s[4:5] offset:2048
	global_load_dwordx2 v[159:160], v5, s[4:5]
	global_load_dwordx2 v[161:162], v6, s[4:5] offset:2048
	v_mul_lo_u32 v5, v24, v143
	v_mul_f32_e32 v106, v0, v4
	v_fmac_f32_e32 v106, v3, v2
	v_mul_f32_e32 v3, v3, v4
	v_lshlrev_b32_sdwa v4, v1, v21 dst_sel:DWORD dst_unused:UNUSED_PAD src0_sel:DWORD src1_sel:BYTE_0
	v_lshlrev_b32_sdwa v7, v1, v5 dst_sel:DWORD dst_unused:UNUSED_PAD src0_sel:DWORD src1_sel:BYTE_0
	v_lshlrev_b32_sdwa v5, v1, v5 dst_sel:DWORD dst_unused:UNUSED_PAD src0_sel:DWORD src1_sel:BYTE_1
	v_fma_f32 v107, v0, v2, -v3
	v_mul_lo_u32 v3, v24, v146
	v_lshlrev_b32_sdwa v6, v1, v21 dst_sel:DWORD dst_unused:UNUSED_PAD src0_sel:DWORD src1_sel:BYTE_1
	global_load_dwordx2 v[163:164], v4, s[4:5]
	global_load_dwordx2 v[165:166], v6, s[4:5] offset:2048
	global_load_dwordx2 v[167:168], v7, s[4:5]
	global_load_dwordx2 v[169:170], v5, s[4:5] offset:2048
	v_mul_lo_u32 v5, v24, v147
	v_lshlrev_b32_sdwa v4, v1, v3 dst_sel:DWORD dst_unused:UNUSED_PAD src0_sel:DWORD src1_sel:BYTE_0
	v_lshlrev_b32_sdwa v3, v1, v3 dst_sel:DWORD dst_unused:UNUSED_PAD src0_sel:DWORD src1_sel:BYTE_1
	s_waitcnt vmcnt(16)
	v_mul_f32_e32 v2, v8, v11
	v_mul_f32_e32 v0, v9, v11
	v_fmac_f32_e32 v2, v9, v10
	v_fma_f32 v0, v8, v10, -v0
	v_mul_f32_e32 v108, v20, v2
	v_mul_f32_e32 v2, v66, v2
	v_fma_f32 v109, v20, v0, -v2
	v_lshlrev_b32_sdwa v2, v1, v5 dst_sel:DWORD dst_unused:UNUSED_PAD src0_sel:DWORD src1_sel:BYTE_0
	v_lshlrev_b32_sdwa v5, v1, v5 dst_sel:DWORD dst_unused:UNUSED_PAD src0_sel:DWORD src1_sel:BYTE_1
	global_load_dwordx2 v[171:172], v4, s[4:5]
	global_load_dwordx2 v[173:174], v3, s[4:5] offset:2048
	global_load_dwordx2 v[175:176], v2, s[4:5]
	global_load_dwordx2 v[177:178], v5, s[4:5] offset:2048
	v_mul_lo_u32 v3, v24, v148
	s_waitcnt vmcnt(18)
	v_mul_f32_e32 v2, v12, v15
	v_fmac_f32_e32 v108, v66, v0
	v_mul_f32_e32 v0, v13, v15
	v_fmac_f32_e32 v2, v13, v14
	v_fma_f32 v0, v12, v14, -v0
	v_mul_f32_e32 v110, v61, v2
	v_mul_f32_e32 v2, v67, v2
	v_fmac_f32_e32 v110, v67, v0
	v_fma_f32 v111, v61, v0, -v2
	v_lshlrev_b32_sdwa v0, v1, v3 dst_sel:DWORD dst_unused:UNUSED_PAD src0_sel:DWORD src1_sel:BYTE_0
	v_lshlrev_b32_sdwa v2, v1, v3 dst_sel:DWORD dst_unused:UNUSED_PAD src0_sel:DWORD src1_sel:BYTE_1
	s_waitcnt vmcnt(16)
	v_mul_f32_e32 v3, v17, v19
	v_fma_f32 v183, v16, v18, -v3
	v_and_b32_e32 v3, 15, v133
	v_mul_lo_u32 v4, v24, v3
	v_or_b32_e32 v6, 16, v3
	v_mul_lo_u32 v6, v24, v6
	v_mul_f32_e32 v184, v16, v19
	v_lshlrev_b32_sdwa v5, v1, v4 dst_sel:DWORD dst_unused:UNUSED_PAD src0_sel:DWORD src1_sel:BYTE_0
	v_lshlrev_b32_sdwa v4, v1, v4 dst_sel:DWORD dst_unused:UNUSED_PAD src0_sel:DWORD src1_sel:BYTE_1
	v_or_b32_e32 v7, 32, v3
	global_load_dwordx2 v[179:180], v0, s[4:5]
	global_load_dwordx2 v[181:182], v2, s[4:5] offset:2048
	global_load_dwordx2 v[58:59], v5, s[4:5]
	global_load_dwordx2 v[60:61], v4, s[4:5] offset:2048
	v_lshlrev_b32_sdwa v0, v1, v6 dst_sel:DWORD dst_unused:UNUSED_PAD src0_sel:DWORD src1_sel:BYTE_0
	v_lshlrev_b32_sdwa v2, v1, v6 dst_sel:DWORD dst_unused:UNUSED_PAD src0_sel:DWORD src1_sel:BYTE_1
	v_or_b32_e32 v5, 48, v3
	v_or_b32_e32 v6, 64, v3
	;; [unrolled: 1-line block ×10, first 2 shown]
	v_mul_lo_u32 v7, v24, v7
	v_mul_lo_u32 v5, v24, v5
	;; [unrolled: 1-line block ×11, first 2 shown]
	v_fmac_f32_e32 v184, v17, v18
	v_lshlrev_b32_sdwa v4, v1, v7 dst_sel:DWORD dst_unused:UNUSED_PAD src0_sel:DWORD src1_sel:BYTE_0
	v_lshlrev_b32_sdwa v7, v1, v7 dst_sel:DWORD dst_unused:UNUSED_PAD src0_sel:DWORD src1_sel:BYTE_1
	v_lshlrev_b32_sdwa v8, v1, v5 dst_sel:DWORD dst_unused:UNUSED_PAD src0_sel:DWORD src1_sel:BYTE_0
	v_lshlrev_b32_sdwa v5, v1, v5 dst_sel:DWORD dst_unused:UNUSED_PAD src0_sel:DWORD src1_sel:BYTE_1
	;; [unrolled: 2-line block ×11, first 2 shown]
	v_mul_u32_u24_e32 v3, 12, v3
	v_lshlrev_b32_e32 v185, 3, v3
	global_load_dwordx2 v[102:103], v0, s[4:5]
	global_load_dwordx2 v[104:105], v2, s[4:5] offset:2048
	global_load_dwordx2 v[98:99], v4, s[4:5]
	global_load_dwordx2 v[100:101], v7, s[4:5] offset:2048
	;; [unrolled: 2-line block ×11, first 2 shown]
	s_nop 0
	global_load_dwordx2 v[54:55], v55, s[4:5]
	s_nop 0
	global_load_dwordx2 v[56:57], v1, s[4:5] offset:2048
	global_load_dwordx4 v[8:11], v185, s[16:17] offset:160
	global_load_dwordx4 v[12:15], v185, s[16:17] offset:144
	;; [unrolled: 1-line block ×4, first 2 shown]
	s_nop 0
	global_load_dwordx4 v[0:3], v185, s[16:17] offset:192
	global_load_dwordx4 v[4:7], v185, s[16:17] offset:176
	v_mul_f32_e32 v112, v120, v184
	v_fmac_f32_e32 v112, v113, v183
	v_mul_f32_e32 v113, v113, v184
	v_fma_f32 v113, v120, v183, -v113
	s_waitcnt vmcnt(48)
	v_mul_f32_e32 v120, v129, v131
	v_mul_f32_e32 v131, v128, v131
	v_fmac_f32_e32 v131, v129, v130
	v_fma_f32 v120, v128, v130, -v120
	v_mul_f32_e32 v128, v123, v131
	v_fmac_f32_e32 v128, v122, v120
	v_mul_f32_e32 v122, v122, v131
	v_fma_f32 v129, v123, v120, -v122
	s_waitcnt vmcnt(46)
	v_mul_f32_e32 v122, v151, v154
	v_mul_f32_e32 v120, v152, v154
	v_fmac_f32_e32 v122, v152, v153
	v_fma_f32 v120, v151, v153, -v120
	v_mul_f32_e32 v130, v125, v122
	v_mul_f32_e32 v122, v124, v122
	v_fma_f32 v131, v125, v120, -v122
	s_waitcnt vmcnt(44)
	v_mul_f32_e32 v122, v155, v158
	v_fmac_f32_e32 v130, v124, v120
	v_mul_f32_e32 v120, v156, v158
	v_fmac_f32_e32 v122, v156, v157
	v_fma_f32 v120, v155, v157, -v120
	v_mul_f32_e32 v124, v127, v122
	v_mul_f32_e32 v122, v126, v122
	v_fma_f32 v125, v127, v120, -v122
	s_waitcnt vmcnt(42)
	v_mul_f32_e32 v122, v159, v162
	v_fmac_f32_e32 v124, v126, v120
	v_mul_f32_e32 v120, v160, v162
	v_fmac_f32_e32 v122, v160, v161
	v_fma_f32 v120, v159, v161, -v120
	v_mul_f32_e32 v126, v150, v122
	v_mul_f32_e32 v122, v149, v122
	s_waitcnt vmcnt(40)
	v_mul_f32_e32 v123, v163, v166
	v_fmac_f32_e32 v126, v149, v120
	v_fma_f32 v127, v150, v120, -v122
	v_mul_f32_e32 v120, v164, v166
	v_fmac_f32_e32 v123, v164, v165
	s_waitcnt vmcnt(38)
	v_mul_f32_e32 v122, v168, v170
	v_mul_f32_e32 v150, v167, v170
	v_fma_f32 v120, v163, v165, -v120
	v_fma_f32 v149, v167, v169, -v122
	v_fmac_f32_e32 v150, v168, v169
	v_mul_f32_e32 v122, v145, v123
	v_mul_f32_e32 v123, v144, v123
	v_fma_f32 v123, v145, v120, -v123
	v_fmac_f32_e32 v122, v144, v120
	v_mul_f32_e32 v120, v52, v150
	v_mul_f32_e32 v116, v121, v150
	s_waitcnt vmcnt(36)
	v_mul_f32_e32 v144, v171, v174
	v_fmac_f32_e32 v120, v121, v149
	v_fma_f32 v121, v52, v149, -v116
	v_mul_f32_e32 v52, v172, v174
	v_fmac_f32_e32 v144, v172, v173
	v_fma_f32 v52, v171, v173, -v52
	v_mul_f32_e32 v116, v118, v144
	v_fmac_f32_e32 v116, v117, v52
	v_mul_f32_e32 v117, v117, v144
	s_waitcnt vmcnt(34)
	v_mul_f32_e32 v144, v175, v178
	v_fma_f32 v117, v118, v52, -v117
	v_mul_f32_e32 v52, v176, v178
	v_fmac_f32_e32 v144, v176, v177
	v_fma_f32 v52, v175, v177, -v52
	v_mul_f32_e32 v118, v119, v144
	v_fmac_f32_e32 v118, v114, v52
	v_mul_f32_e32 v114, v114, v144
	s_waitcnt vmcnt(32)
	v_mul_f32_e32 v144, v179, v182
	v_fma_f32 v119, v119, v52, -v114
	v_mul_f32_e32 v52, v180, v182
	v_fmac_f32_e32 v144, v180, v181
	v_fma_f32 v52, v179, v181, -v52
	v_mul_f32_e32 v114, v115, v144
	v_fmac_f32_e32 v114, v53, v52
	v_mul_f32_e32 v53, v53, v144
	v_fma_f32 v115, v115, v52, -v53
	s_cbranch_vccnz .LBB0_18
; %bb.17:
	v_mad_u64_u32 v[52:53], s[0:1], s12, v134, 0
	v_mad_u64_u32 v[144:145], s[0:1], s8, v132, 0
	s_waitcnt vmcnt(7)
	v_mad_u64_u32 v[149:150], s[0:1], s13, v134, v[53:54]
	v_mov_b32_e32 v53, v145
	v_mad_u64_u32 v[150:151], s[0:1], s9, v132, v[53:54]
	v_mov_b32_e32 v53, v149
	s_lshl_b64 s[0:1], s[6:7], 3
	s_add_u32 s0, s14, s0
	v_lshlrev_b64 v[52:53], 3, v[52:53]
	s_addc_u32 s1, s15, s1
	v_mov_b32_e32 v149, s1
	v_add_co_u32_e32 v52, vcc, s0, v52
	v_mov_b32_e32 v145, v150
	v_addc_co_u32_e32 v53, vcc, v149, v53, vcc
	v_mad_u64_u32 v[149:150], s[0:1], s8, v135, 0
	v_lshlrev_b64 v[144:145], 3, v[144:145]
	v_mad_u64_u32 v[150:151], s[0:1], s9, v135, v[150:151]
	v_mad_u64_u32 v[151:152], s[0:1], s8, v136, 0
	v_add_co_u32_e32 v144, vcc, v52, v144
	v_addc_co_u32_e32 v145, vcc, v53, v145, vcc
	global_store_dwordx2 v[144:145], v[106:107], off
	v_lshlrev_b64 v[144:145], 3, v[149:150]
	v_mov_b32_e32 v149, v152
	v_mad_u64_u32 v[149:150], s[0:1], s9, v136, v[149:150]
	v_add_co_u32_e32 v144, vcc, v52, v144
	v_mov_b32_e32 v152, v149
	v_mad_u64_u32 v[149:150], s[0:1], s8, v137, 0
	v_addc_co_u32_e32 v145, vcc, v53, v145, vcc
	global_store_dwordx2 v[144:145], v[108:109], off
	v_lshlrev_b64 v[144:145], 3, v[151:152]
	v_mad_u64_u32 v[150:151], s[0:1], s9, v137, v[150:151]
	v_mad_u64_u32 v[151:152], s[0:1], s8, v138, 0
	v_add_co_u32_e32 v144, vcc, v52, v144
	v_addc_co_u32_e32 v145, vcc, v53, v145, vcc
	global_store_dwordx2 v[144:145], v[110:111], off
	v_lshlrev_b64 v[144:145], 3, v[149:150]
	v_mov_b32_e32 v149, v152
	v_mad_u64_u32 v[149:150], s[0:1], s9, v138, v[149:150]
	v_add_co_u32_e32 v144, vcc, v52, v144
	v_mov_b32_e32 v152, v149
	v_mad_u64_u32 v[149:150], s[0:1], s8, v139, 0
	v_addc_co_u32_e32 v145, vcc, v53, v145, vcc
	global_store_dwordx2 v[144:145], v[112:113], off
	v_lshlrev_b64 v[144:145], 3, v[151:152]
	v_mad_u64_u32 v[150:151], s[0:1], s9, v139, v[150:151]
	v_add_co_u32_e32 v144, vcc, v52, v144
	v_addc_co_u32_e32 v145, vcc, v53, v145, vcc
	v_mad_u64_u32 v[151:152], s[0:1], s8, v140, 0
	global_store_dwordx2 v[144:145], v[128:129], off
	v_lshlrev_b64 v[144:145], 3, v[149:150]
	v_mov_b32_e32 v139, v152
	v_add_co_u32_e32 v144, vcc, v52, v144
	v_addc_co_u32_e32 v145, vcc, v53, v145, vcc
	v_mad_u64_u32 v[139:140], s[0:1], s9, v140, v[139:140]
	global_store_dwordx2 v[144:145], v[130:131], off
	v_mad_u64_u32 v[144:145], s[0:1], s8, v141, 0
	v_mov_b32_e32 v152, v139
	v_lshlrev_b64 v[139:140], 3, v[151:152]
	v_mad_u64_u32 v[149:150], s[0:1], s9, v141, v[145:146]
	v_mad_u64_u32 v[150:151], s[0:1], s8, v142, 0
	v_add_co_u32_e32 v139, vcc, v52, v139
	v_mov_b32_e32 v141, v151
	v_mad_u64_u32 v[141:142], s[0:1], s9, v142, v[141:142]
	v_addc_co_u32_e32 v140, vcc, v53, v140, vcc
	v_mov_b32_e32 v145, v149
	v_mov_b32_e32 v151, v141
	v_mad_u64_u32 v[141:142], s[0:1], s8, v143, 0
	global_store_dwordx2 v[139:140], v[124:125], off
	v_lshlrev_b64 v[139:140], 3, v[144:145]
	v_mad_u64_u32 v[142:143], s[0:1], s9, v143, v[142:143]
	v_add_co_u32_e32 v139, vcc, v52, v139
	v_addc_co_u32_e32 v140, vcc, v53, v140, vcc
	global_store_dwordx2 v[139:140], v[126:127], off
	v_lshlrev_b64 v[139:140], 3, v[150:151]
	v_mad_u64_u32 v[143:144], s[0:1], s8, v146, 0
	v_add_co_u32_e32 v139, vcc, v52, v139
	v_addc_co_u32_e32 v140, vcc, v53, v140, vcc
	global_store_dwordx2 v[139:140], v[122:123], off
	v_lshlrev_b64 v[139:140], 3, v[141:142]
	v_mov_b32_e32 v141, v144
	v_mad_u64_u32 v[141:142], s[0:1], s9, v146, v[141:142]
	v_add_co_u32_e32 v139, vcc, v52, v139
	v_mov_b32_e32 v144, v141
	v_mad_u64_u32 v[141:142], s[0:1], s8, v147, 0
	v_addc_co_u32_e32 v140, vcc, v53, v140, vcc
	global_store_dwordx2 v[139:140], v[120:121], off
	v_lshlrev_b64 v[139:140], 3, v[143:144]
	v_mad_u64_u32 v[142:143], s[0:1], s9, v147, v[142:143]
	v_mad_u64_u32 v[143:144], s[0:1], s8, v148, 0
	v_add_co_u32_e32 v139, vcc, v52, v139
	v_addc_co_u32_e32 v140, vcc, v53, v140, vcc
	global_store_dwordx2 v[139:140], v[116:117], off
	v_lshlrev_b64 v[139:140], 3, v[141:142]
	v_mov_b32_e32 v141, v144
	v_mad_u64_u32 v[141:142], s[0:1], s9, v148, v[141:142]
	v_add_co_u32_e32 v139, vcc, v52, v139
	v_addc_co_u32_e32 v140, vcc, v53, v140, vcc
	v_mov_b32_e32 v144, v141
	global_store_dwordx2 v[139:140], v[118:119], off
	v_lshlrev_b64 v[139:140], 3, v[143:144]
	s_and_b64 s[0:1], s[2:3], exec
	v_add_co_u32_e32 v139, vcc, v52, v139
	v_addc_co_u32_e32 v140, vcc, v53, v140, vcc
	global_store_dwordx2 v[139:140], v[114:115], off
	s_cbranch_execz .LBB0_19
	s_branch .LBB0_22
.LBB0_18:
	s_mov_b64 s[0:1], 0
                                        ; implicit-def: $vgpr52_vgpr53
.LBB0_19:
	v_cmp_gt_u64_e32 vcc, s[10:11], v[24:25]
                                        ; implicit-def: $vgpr52_vgpr53
	s_and_saveexec_b64 s[4:5], vcc
	s_cbranch_execz .LBB0_21
; %bb.20:
	v_mad_u64_u32 v[24:25], s[10:11], s12, v134, 0
	v_mad_u64_u32 v[139:140], s[10:11], s8, v132, 0
	;; [unrolled: 1-line block ×3, first 2 shown]
	v_mov_b32_e32 v25, v140
	v_mad_u64_u32 v[140:141], s[10:11], s9, v132, v[25:26]
	v_mov_b32_e32 v25, v52
	s_lshl_b64 s[6:7], s[6:7], 3
	s_add_u32 s6, s14, s6
	v_lshlrev_b64 v[24:25], 3, v[24:25]
	s_addc_u32 s7, s15, s7
	v_mov_b32_e32 v53, s7
	v_add_co_u32_e32 v52, vcc, s6, v24
	v_addc_co_u32_e32 v53, vcc, v53, v25, vcc
	v_lshlrev_b64 v[24:25], 3, v[139:140]
	v_mad_u64_u32 v[139:140], s[6:7], s8, v135, 0
	v_mad_u64_u32 v[141:142], s[6:7], s8, v136, 0
	v_add_co_u32_e32 v24, vcc, v52, v24
	v_addc_co_u32_e32 v25, vcc, v53, v25, vcc
	v_mov_b32_e32 v134, v140
	v_mad_u64_u32 v[134:135], s[6:7], s9, v135, v[134:135]
	global_store_dwordx2 v[24:25], v[106:107], off
	v_mov_b32_e32 v106, v142
	v_mad_u64_u32 v[106:107], s[6:7], s9, v136, v[106:107]
	v_mov_b32_e32 v140, v134
	v_lshlrev_b64 v[24:25], 3, v[139:140]
	v_mov_b32_e32 v142, v106
	v_mad_u64_u32 v[106:107], s[6:7], s8, v137, 0
	v_add_co_u32_e32 v24, vcc, v52, v24
	v_addc_co_u32_e32 v25, vcc, v53, v25, vcc
	global_store_dwordx2 v[24:25], v[108:109], off
	v_mad_u64_u32 v[107:108], s[6:7], s9, v137, v[107:108]
	v_lshlrev_b64 v[24:25], 3, v[141:142]
	v_mad_u64_u32 v[108:109], s[6:7], s8, v138, 0
	v_add_co_u32_e32 v24, vcc, v52, v24
	v_addc_co_u32_e32 v25, vcc, v53, v25, vcc
	global_store_dwordx2 v[24:25], v[110:111], off
	v_lshlrev_b64 v[24:25], 3, v[106:107]
	v_mov_b32_e32 v106, v109
	v_mad_u64_u32 v[106:107], s[6:7], s9, v138, v[106:107]
	v_add_co_u32_e32 v24, vcc, v52, v24
	v_addc_co_u32_e32 v25, vcc, v53, v25, vcc
	v_mov_b32_e32 v109, v106
	global_store_dwordx2 v[24:25], v[112:113], off
	v_lshlrev_b64 v[24:25], 3, v[108:109]
	v_or_b32_e32 v108, 0x50, v132
	v_mad_u64_u32 v[106:107], s[6:7], s8, v108, 0
	v_or_b32_e32 v110, 0x60, v132
	v_add_co_u32_e32 v24, vcc, v52, v24
	v_mad_u64_u32 v[107:108], s[6:7], s9, v108, v[107:108]
	v_mad_u64_u32 v[108:109], s[6:7], s8, v110, 0
	v_addc_co_u32_e32 v25, vcc, v53, v25, vcc
	global_store_dwordx2 v[24:25], v[128:129], off
	v_lshlrev_b64 v[24:25], 3, v[106:107]
	v_mov_b32_e32 v106, v109
	v_mad_u64_u32 v[106:107], s[6:7], s9, v110, v[106:107]
	v_add_co_u32_e32 v24, vcc, v52, v24
	v_addc_co_u32_e32 v25, vcc, v53, v25, vcc
	v_mov_b32_e32 v109, v106
	global_store_dwordx2 v[24:25], v[130:131], off
	v_lshlrev_b64 v[24:25], 3, v[108:109]
	v_or_b32_e32 v108, 0x70, v132
	v_mad_u64_u32 v[106:107], s[6:7], s8, v108, 0
	v_or_b32_e32 v110, 0x80, v132
	v_add_co_u32_e32 v24, vcc, v52, v24
	v_mad_u64_u32 v[107:108], s[6:7], s9, v108, v[107:108]
	v_mad_u64_u32 v[108:109], s[6:7], s8, v110, 0
	;; [unrolled: 16-line block ×4, first 2 shown]
	v_addc_co_u32_e32 v25, vcc, v53, v25, vcc
	global_store_dwordx2 v[24:25], v[116:117], off
	v_lshlrev_b64 v[24:25], 3, v[106:107]
	v_mov_b32_e32 v106, v109
	v_mad_u64_u32 v[106:107], s[6:7], s9, v110, v[106:107]
	v_add_co_u32_e32 v24, vcc, v52, v24
	v_addc_co_u32_e32 v25, vcc, v53, v25, vcc
	v_mov_b32_e32 v109, v106
	global_store_dwordx2 v[24:25], v[118:119], off
	v_lshlrev_b64 v[24:25], 3, v[108:109]
	s_andn2_b64 s[0:1], s[0:1], exec
	v_add_co_u32_e32 v24, vcc, v52, v24
	s_and_b64 s[2:3], s[2:3], exec
	v_addc_co_u32_e32 v25, vcc, v53, v25, vcc
	s_or_b64 s[0:1], s[0:1], s[2:3]
	global_store_dwordx2 v[24:25], v[114:115], off
.LBB0_21:
	s_or_b64 exec, exec, s[4:5]
.LBB0_22:
	s_and_saveexec_b64 s[2:3], s[0:1]
	s_cbranch_execnz .LBB0_24
; %bb.23:
	s_endpgm
.LBB0_24:
	s_waitcnt vmcnt(2)
	v_mul_f32_e32 v24, v29, v21
	v_mul_f32_e32 v21, v28, v21
	v_fmac_f32_e32 v24, v28, v20
	v_fma_f32 v20, v29, v20, -v21
	v_mul_f32_e32 v21, v31, v23
	v_mul_f32_e32 v23, v30, v23
	v_fmac_f32_e32 v21, v30, v22
	v_fma_f32 v22, v31, v22, -v23
	;; [unrolled: 4-line block ×8, first 2 shown]
	s_waitcnt vmcnt(0)
	v_mul_f32_e32 v11, v47, v5
	v_mul_f32_e32 v5, v46, v5
	v_fmac_f32_e32 v11, v46, v4
	v_fma_f32 v4, v47, v4, -v5
	v_mul_f32_e32 v5, v37, v7
	v_mul_f32_e32 v7, v36, v7
	v_fmac_f32_e32 v5, v36, v6
	v_fma_f32 v6, v37, v6, -v7
	;; [unrolled: 4-line block ×3, first 2 shown]
	v_mul_f32_e32 v1, v33, v3
	v_mul_f32_e32 v3, v32, v3
	v_add_f32_e32 v25, v27, v20
	v_fmac_f32_e32 v1, v32, v2
	v_fma_f32 v2, v33, v2, -v3
	v_add_f32_e32 v3, v26, v24
	v_add_f32_e32 v25, v25, v22
	v_add_f32_e32 v3, v3, v21
	v_add_f32_e32 v25, v25, v16
	v_add_f32_e32 v3, v3, v23
	v_add_f32_e32 v25, v25, v18
	v_add_f32_e32 v3, v3, v17
	v_add_f32_e32 v25, v25, v12
	v_add_f32_e32 v3, v3, v19
	v_add_f32_e32 v25, v25, v14
	v_add_f32_e32 v3, v3, v13
	v_add_f32_e32 v25, v25, v8
	v_add_f32_e32 v3, v3, v15
	v_add_f32_e32 v25, v25, v10
	v_add_f32_e32 v3, v3, v9
	v_add_f32_e32 v25, v25, v4
	v_add_f32_e32 v3, v3, v11
	v_add_f32_e32 v25, v25, v6
	v_add_f32_e32 v3, v3, v5
	v_add_f32_e32 v25, v25, v0
	v_add_f32_e32 v29, v20, v2
	v_add_f32_e32 v3, v3, v7
	v_add_f32_e32 v25, v25, v2
	v_sub_f32_e32 v2, v20, v2
	v_mul_f32_e32 v30, 0x3f62ad3f, v29
	v_mul_f32_e32 v34, 0x3f116cb1, v29
	;; [unrolled: 1-line block ×6, first 2 shown]
	v_add_f32_e32 v3, v3, v1
	v_add_f32_e32 v28, v24, v1
	v_sub_f32_e32 v1, v24, v1
	v_mul_f32_e32 v20, 0xbeedf032, v2
	v_mov_b32_e32 v31, v30
	v_mul_f32_e32 v32, 0xbf52af12, v2
	v_mov_b32_e32 v35, v34
	;; [unrolled: 2-line block ×6, first 2 shown]
	s_mov_b32 s2, 0x3f62ad3f
	v_fmac_f32_e32 v31, 0x3eedf032, v1
	v_fmac_f32_e32 v30, 0xbeedf032, v1
	s_mov_b32 s1, 0x3f116cb1
	v_fmac_f32_e32 v35, 0x3f52af12, v1
	v_fmac_f32_e32 v34, 0xbf52af12, v1
	;; [unrolled: 3-line block ×5, first 2 shown]
	s_mov_b32 s5, 0xbf788fa5
	v_mov_b32_e32 v48, v2
	v_fmac_f32_e32 v49, 0x3e750f2a, v1
	v_fmac_f32_e32 v29, 0xbe750f2a, v1
	v_fma_f32 v24, v28, s2, -v20
	v_fmac_f32_e32 v20, 0x3f62ad3f, v28
	v_add_f32_e32 v31, v27, v31
	v_add_f32_e32 v30, v27, v30
	v_fma_f32 v33, v28, s1, -v32
	v_fmac_f32_e32 v32, 0x3f116cb1, v28
	v_add_f32_e32 v35, v27, v35
	v_add_f32_e32 v34, v27, v34
	;; [unrolled: 4-line block ×5, first 2 shown]
	v_fmac_f32_e32 v48, 0xbf788fa5, v28
	v_add_f32_e32 v49, v27, v49
	v_fma_f32 v2, v28, s5, -v2
	v_add_f32_e32 v1, v27, v29
	v_add_f32_e32 v27, v22, v0
	v_sub_f32_e32 v0, v22, v0
	v_add_f32_e32 v20, v26, v20
	v_add_f32_e32 v24, v26, v24
	v_add_f32_e32 v32, v26, v32
	v_add_f32_e32 v33, v26, v33
	v_add_f32_e32 v36, v26, v36
	v_add_f32_e32 v37, v26, v37
	v_add_f32_e32 v40, v26, v40
	v_add_f32_e32 v41, v26, v41
	v_add_f32_e32 v44, v26, v44
	v_add_f32_e32 v45, v26, v45
	v_add_f32_e32 v48, v26, v48
	v_add_f32_e32 v2, v26, v2
	v_add_f32_e32 v26, v21, v7
	v_sub_f32_e32 v7, v21, v7
	v_mul_f32_e32 v21, 0xbf52af12, v0
	v_fma_f32 v22, v26, s1, -v21
	v_fmac_f32_e32 v21, 0x3f116cb1, v26
	v_add_f32_e32 v20, v21, v20
	v_mul_f32_e32 v21, 0x3f116cb1, v27
	v_mov_b32_e32 v28, v21
	v_add_f32_e32 v22, v22, v24
	v_fmac_f32_e32 v21, 0xbf52af12, v7
	v_mul_f32_e32 v24, 0xbf6f5d39, v0
	v_fmac_f32_e32 v28, 0x3f52af12, v7
	v_add_f32_e32 v21, v21, v30
	v_fma_f32 v29, v26, s3, -v24
	v_fmac_f32_e32 v24, 0xbeb58ec6, v26
	v_mul_f32_e32 v30, 0xbeb58ec6, v27
	v_add_f32_e32 v28, v28, v31
	v_add_f32_e32 v24, v24, v32
	v_mov_b32_e32 v31, v30
	v_fmac_f32_e32 v30, 0xbf6f5d39, v7
	v_mul_f32_e32 v32, 0xbe750f2a, v0
	v_fmac_f32_e32 v31, 0x3f6f5d39, v7
	v_add_f32_e32 v29, v29, v33
	v_add_f32_e32 v30, v30, v34
	v_fma_f32 v33, v26, s5, -v32
	v_fmac_f32_e32 v32, 0xbf788fa5, v26
	v_mul_f32_e32 v34, 0xbf788fa5, v27
	v_add_f32_e32 v31, v31, v35
	v_add_f32_e32 v32, v32, v36
	v_mov_b32_e32 v35, v34
	v_fmac_f32_e32 v34, 0xbe750f2a, v7
	v_mul_f32_e32 v36, 0x3f29c268, v0
	v_fmac_f32_e32 v35, 0x3e750f2a, v7
	v_add_f32_e32 v33, v33, v37
	;; [unrolled: 11-line block ×3, first 2 shown]
	v_add_f32_e32 v38, v38, v42
	v_fma_f32 v41, v26, s0, -v40
	v_mul_f32_e32 v42, 0x3df6dbef, v27
	v_mul_f32_e32 v27, 0x3f62ad3f, v27
	v_add_f32_e32 v39, v39, v43
	v_fmac_f32_e32 v40, 0x3df6dbef, v26
	v_mov_b32_e32 v43, v42
	v_add_f32_e32 v41, v41, v45
	v_mul_f32_e32 v0, 0x3eedf032, v0
	v_mov_b32_e32 v45, v27
	v_add_f32_e32 v40, v40, v44
	v_fmac_f32_e32 v43, 0xbf7e222b, v7
	v_fmac_f32_e32 v42, 0x3f7e222b, v7
	v_mov_b32_e32 v44, v0
	v_fmac_f32_e32 v45, 0xbeedf032, v7
	v_fma_f32 v0, v26, s2, -v0
	v_fmac_f32_e32 v27, 0x3eedf032, v7
	v_add_f32_e32 v7, v16, v6
	v_sub_f32_e32 v6, v16, v6
	v_add_f32_e32 v0, v0, v2
	v_add_f32_e32 v2, v23, v5
	v_mul_f32_e32 v16, 0xbf7e222b, v6
	v_sub_f32_e32 v5, v23, v5
	v_fma_f32 v23, v2, s0, -v16
	v_fmac_f32_e32 v16, 0x3df6dbef, v2
	v_add_f32_e32 v16, v16, v20
	v_mul_f32_e32 v20, 0x3df6dbef, v7
	v_fmac_f32_e32 v44, 0x3f62ad3f, v26
	v_mov_b32_e32 v26, v20
	v_fmac_f32_e32 v20, 0xbf7e222b, v5
	v_add_f32_e32 v20, v20, v21
	v_mul_f32_e32 v21, 0xbe750f2a, v6
	v_add_f32_e32 v22, v23, v22
	v_fma_f32 v23, v2, s5, -v21
	v_fmac_f32_e32 v21, 0xbf788fa5, v2
	v_fmac_f32_e32 v26, 0x3f7e222b, v5
	v_add_f32_e32 v21, v21, v24
	v_mul_f32_e32 v24, 0xbf788fa5, v7
	v_add_f32_e32 v1, v27, v1
	v_add_f32_e32 v26, v26, v28
	v_mov_b32_e32 v27, v24
	v_fmac_f32_e32 v24, 0xbe750f2a, v5
	v_mul_f32_e32 v28, 0x3f6f5d39, v6
	v_fmac_f32_e32 v27, 0x3e750f2a, v5
	v_add_f32_e32 v23, v23, v29
	v_add_f32_e32 v24, v24, v30
	v_fma_f32 v29, v2, s3, -v28
	v_fmac_f32_e32 v28, 0xbeb58ec6, v2
	v_mul_f32_e32 v30, 0xbeb58ec6, v7
	v_add_f32_e32 v27, v27, v31
	v_add_f32_e32 v28, v28, v32
	v_mov_b32_e32 v31, v30
	v_fmac_f32_e32 v30, 0x3f6f5d39, v5
	v_mul_f32_e32 v32, 0x3eedf032, v6
	v_fmac_f32_e32 v31, 0xbf6f5d39, v5
	v_add_f32_e32 v29, v29, v33
	v_add_f32_e32 v30, v30, v34
	v_fma_f32 v33, v2, s2, -v32
	v_fmac_f32_e32 v32, 0x3f62ad3f, v2
	;; [unrolled: 11-line block ×3, first 2 shown]
	v_mul_f32_e32 v38, 0x3f116cb1, v7
	v_mul_f32_e32 v6, 0xbf29c268, v6
	;; [unrolled: 1-line block ×3, first 2 shown]
	v_add_f32_e32 v35, v35, v39
	v_add_f32_e32 v36, v36, v40
	v_mov_b32_e32 v39, v38
	v_add_f32_e32 v37, v37, v41
	v_mov_b32_e32 v40, v6
	v_mov_b32_e32 v41, v7
	v_fmac_f32_e32 v39, 0x3f52af12, v5
	v_fmac_f32_e32 v38, 0xbf52af12, v5
	;; [unrolled: 1-line block ×4, first 2 shown]
	v_fma_f32 v2, v2, s4, -v6
	v_fmac_f32_e32 v7, 0xbf29c268, v5
	v_add_f32_e32 v5, v18, v4
	v_sub_f32_e32 v4, v18, v4
	v_add_f32_e32 v0, v2, v0
	v_add_f32_e32 v1, v7, v1
	;; [unrolled: 1-line block ×3, first 2 shown]
	v_mul_f32_e32 v7, 0xbf6f5d39, v4
	v_sub_f32_e32 v6, v17, v11
	v_fma_f32 v11, v2, s3, -v7
	v_fmac_f32_e32 v7, 0xbeb58ec6, v2
	v_add_f32_e32 v7, v7, v16
	v_mul_f32_e32 v16, 0xbeb58ec6, v5
	v_mov_b32_e32 v17, v16
	v_fmac_f32_e32 v16, 0xbf6f5d39, v6
	v_mul_f32_e32 v18, 0x3f29c268, v4
	v_add_f32_e32 v16, v16, v20
	v_fma_f32 v20, v2, s4, -v18
	v_fmac_f32_e32 v18, 0xbf3f9e67, v2
	v_add_f32_e32 v18, v18, v21
	v_mul_f32_e32 v21, 0xbf3f9e67, v5
	v_fmac_f32_e32 v17, 0x3f6f5d39, v6
	v_add_f32_e32 v11, v11, v22
	v_mov_b32_e32 v22, v21
	v_add_f32_e32 v20, v20, v23
	v_fmac_f32_e32 v21, 0x3f29c268, v6
	v_mul_f32_e32 v23, 0x3eedf032, v4
	v_add_f32_e32 v17, v17, v26
	v_fmac_f32_e32 v22, 0xbf29c268, v6
	v_add_f32_e32 v21, v21, v24
	v_fma_f32 v24, v2, s2, -v23
	v_fmac_f32_e32 v23, 0x3f62ad3f, v2
	v_mul_f32_e32 v26, 0x3f62ad3f, v5
	v_add_f32_e32 v22, v22, v27
	v_add_f32_e32 v23, v23, v28
	v_mov_b32_e32 v27, v26
	v_fmac_f32_e32 v26, 0x3eedf032, v6
	v_mul_f32_e32 v28, 0xbf7e222b, v4
	v_fmac_f32_e32 v27, 0xbeedf032, v6
	v_add_f32_e32 v24, v24, v29
	v_add_f32_e32 v26, v26, v30
	v_fma_f32 v29, v2, s0, -v28
	v_fmac_f32_e32 v28, 0x3df6dbef, v2
	v_mul_f32_e32 v30, 0x3df6dbef, v5
	v_add_f32_e32 v27, v27, v31
	v_add_f32_e32 v28, v28, v32
	v_mov_b32_e32 v31, v30
	v_fmac_f32_e32 v30, 0xbf7e222b, v6
	v_mul_f32_e32 v32, 0x3e750f2a, v4
	v_fmac_f32_e32 v31, 0x3f7e222b, v6
	v_add_f32_e32 v29, v29, v33
	v_add_f32_e32 v30, v30, v34
	v_fma_f32 v33, v2, s5, -v32
	v_fmac_f32_e32 v32, 0xbf788fa5, v2
	v_mul_f32_e32 v34, 0xbf788fa5, v5
	v_mul_f32_e32 v4, 0x3f52af12, v4
	;; [unrolled: 1-line block ×3, first 2 shown]
	v_add_f32_e32 v31, v31, v35
	v_add_f32_e32 v32, v32, v36
	v_mov_b32_e32 v35, v34
	v_add_f32_e32 v33, v33, v37
	v_mov_b32_e32 v36, v4
	v_mov_b32_e32 v37, v5
	v_fmac_f32_e32 v35, 0xbe750f2a, v6
	v_fmac_f32_e32 v34, 0x3e750f2a, v6
	;; [unrolled: 1-line block ×4, first 2 shown]
	v_fma_f32 v2, v2, s1, -v4
	v_fmac_f32_e32 v5, 0x3f52af12, v6
	v_sub_f32_e32 v6, v12, v10
	v_add_f32_e32 v0, v2, v0
	v_add_f32_e32 v1, v5, v1
	;; [unrolled: 1-line block ×3, first 2 shown]
	v_sub_f32_e32 v5, v19, v9
	v_mul_f32_e32 v9, 0xbf29c268, v6
	v_add_f32_e32 v4, v12, v10
	v_fma_f32 v10, v2, s4, -v9
	v_fmac_f32_e32 v9, 0xbf3f9e67, v2
	v_add_f32_e32 v7, v9, v7
	v_mul_f32_e32 v9, 0xbf3f9e67, v4
	v_mov_b32_e32 v12, v9
	v_fmac_f32_e32 v12, 0x3f29c268, v5
	v_add_f32_e32 v10, v10, v11
	v_fmac_f32_e32 v9, 0xbf29c268, v5
	v_mul_f32_e32 v11, 0x3f7e222b, v6
	v_add_f32_e32 v12, v12, v17
	v_add_f32_e32 v9, v9, v16
	v_fma_f32 v16, v2, s0, -v11
	v_fmac_f32_e32 v11, 0x3df6dbef, v2
	v_mul_f32_e32 v17, 0x3df6dbef, v4
	v_mul_f32_e32 v19, 0xbf52af12, v6
	v_add_f32_e32 v11, v11, v18
	v_mov_b32_e32 v18, v17
	v_add_f32_e32 v16, v16, v20
	v_fmac_f32_e32 v17, 0x3f7e222b, v5
	v_fma_f32 v20, v2, s1, -v19
	v_fmac_f32_e32 v19, 0x3f116cb1, v2
	v_fmac_f32_e32 v18, 0xbf7e222b, v5
	v_add_f32_e32 v17, v17, v21
	v_add_f32_e32 v19, v19, v23
	v_mul_f32_e32 v21, 0x3f116cb1, v4
	v_mul_f32_e32 v23, 0x3e750f2a, v6
	v_add_f32_e32 v18, v18, v22
	v_mov_b32_e32 v22, v21
	v_add_f32_e32 v20, v20, v24
	v_fmac_f32_e32 v21, 0xbf52af12, v5
	v_fma_f32 v24, v2, s5, -v23
	v_fmac_f32_e32 v23, 0xbf788fa5, v2
	v_fmac_f32_e32 v22, 0x3f52af12, v5
	v_add_f32_e32 v21, v21, v26
	v_add_f32_e32 v23, v23, v28
	v_mul_f32_e32 v26, 0xbf788fa5, v4
	v_mul_f32_e32 v28, 0x3eedf032, v6
	v_add_f32_e32 v22, v22, v27
	v_mov_b32_e32 v27, v26
	v_add_f32_e32 v24, v24, v29
	v_fmac_f32_e32 v26, 0x3e750f2a, v5
	v_fma_f32 v29, v2, s2, -v28
	v_fmac_f32_e32 v28, 0x3f62ad3f, v2
	v_mul_f32_e32 v6, 0xbf6f5d39, v6
	v_add_f32_e32 v26, v26, v30
	v_add_f32_e32 v28, v28, v32
	v_mul_f32_e32 v30, 0x3f62ad3f, v4
	v_mov_b32_e32 v32, v6
	v_mul_f32_e32 v4, 0xbeb58ec6, v4
	v_fmac_f32_e32 v27, 0xbe750f2a, v5
	v_add_f32_e32 v29, v29, v33
	v_fmac_f32_e32 v32, 0xbeb58ec6, v2
	v_mov_b32_e32 v33, v4
	v_fma_f32 v2, v2, s3, -v6
	v_fmac_f32_e32 v4, 0xbf6f5d39, v5
	v_sub_f32_e32 v6, v14, v8
	v_add_f32_e32 v27, v27, v31
	v_mov_b32_e32 v31, v30
	v_add_f32_e32 v0, v2, v0
	v_add_f32_e32 v1, v4, v1
	;; [unrolled: 1-line block ×4, first 2 shown]
	v_mul_f32_e32 v8, 0xbe750f2a, v6
	v_add_f32_e32 v43, v43, v47
	v_fmac_f32_e32 v31, 0xbeedf032, v5
	v_fmac_f32_e32 v30, 0x3eedf032, v5
	;; [unrolled: 1-line block ×3, first 2 shown]
	v_sub_f32_e32 v5, v13, v15
	v_fma_f32 v13, v2, s5, -v8
	v_fmac_f32_e32 v8, 0xbf788fa5, v2
	v_add_f32_e32 v42, v42, v46
	v_add_f32_e32 v39, v39, v43
	;; [unrolled: 1-line block ×3, first 2 shown]
	v_mul_f32_e32 v8, 0xbf788fa5, v4
	v_add_f32_e32 v44, v44, v48
	v_add_f32_e32 v38, v38, v42
	;; [unrolled: 1-line block ×3, first 2 shown]
	v_mov_b32_e32 v14, v8
	v_fmac_f32_e32 v8, 0xbe750f2a, v5
	v_add_f32_e32 v45, v45, v49
	v_add_f32_e32 v40, v40, v44
	;; [unrolled: 1-line block ×5, first 2 shown]
	v_mul_f32_e32 v8, 0x3eedf032, v6
	v_add_f32_e32 v41, v41, v45
	v_add_f32_e32 v36, v36, v40
	;; [unrolled: 1-line block ×3, first 2 shown]
	v_fmac_f32_e32 v14, 0x3e750f2a, v5
	v_add_f32_e32 v34, v13, v10
	v_fma_f32 v9, v2, s2, -v8
	v_fmac_f32_e32 v8, 0x3f62ad3f, v2
	v_mul_f32_e32 v10, 0x3f62ad3f, v4
	v_mul_f32_e32 v13, 0xbf3f9e67, v4
	v_add_f32_e32 v37, v37, v41
	v_add_f32_e32 v32, v32, v36
	;; [unrolled: 1-line block ×4, first 2 shown]
	v_mov_b32_e32 v11, v10
	v_add_f32_e32 v36, v9, v16
	v_fmac_f32_e32 v10, 0x3eedf032, v5
	v_mul_f32_e32 v9, 0xbf29c268, v6
	v_mov_b32_e32 v14, v13
	v_add_f32_e32 v33, v33, v37
	v_add_f32_e32 v37, v10, v17
	v_fma_f32 v10, v2, s4, -v9
	v_fmac_f32_e32 v14, 0x3f29c268, v5
	v_add_f32_e32 v14, v14, v22
	v_add_f32_e32 v22, v10, v20
	v_fmac_f32_e32 v13, 0xbf29c268, v5
	v_mul_f32_e32 v10, 0x3f52af12, v6
	v_fmac_f32_e32 v9, 0xbf3f9e67, v2
	v_add_f32_e32 v21, v13, v21
	v_fma_f32 v13, v2, s1, -v10
	v_mul_f32_e32 v15, 0x3f116cb1, v4
	v_add_f32_e32 v9, v9, v19
	v_mov_b32_e32 v16, v15
	v_add_f32_e32 v19, v13, v24
	v_fmac_f32_e32 v15, 0x3f52af12, v5
	v_mul_f32_e32 v13, 0xbf6f5d39, v6
	v_fmac_f32_e32 v10, 0x3f116cb1, v2
	v_add_f32_e32 v20, v15, v26
	v_fma_f32 v15, v2, s3, -v13
	v_mul_f32_e32 v6, 0x3f7e222b, v6
	v_add_f32_e32 v10, v10, v23
	v_add_f32_e32 v23, v15, v29
	v_mov_b32_e32 v15, v6
	v_fmac_f32_e32 v13, 0xbeb58ec6, v2
	v_fmac_f32_e32 v15, 0x3df6dbef, v2
	v_fma_f32 v2, v2, s0, -v6
	v_mul_f32_e32 v17, 0xbeb58ec6, v4
	v_mul_f32_e32 v4, 0x3df6dbef, v4
	v_add_f32_e32 v26, v2, v0
	v_mul_f32_e32 v2, v58, v61
	v_fmac_f32_e32 v16, 0xbf52af12, v5
	v_mov_b32_e32 v24, v4
	v_fmac_f32_e32 v4, 0x3f7e222b, v5
	v_mul_f32_e32 v0, v59, v61
	v_fmac_f32_e32 v2, v59, v60
	v_add_f32_e32 v16, v16, v27
	v_add_f32_e32 v27, v4, v1
	v_fma_f32 v1, v58, v60, -v0
	v_mul_f32_e32 v0, v25, v2
	v_mul_f32_e32 v2, v3, v2
	;; [unrolled: 1-line block ×3, first 2 shown]
	v_fmac_f32_e32 v0, v3, v1
	v_fma_f32 v1, v25, v1, -v2
	v_mul_f32_e32 v2, v103, v105
	v_fmac_f32_e32 v4, v103, v104
	v_fmac_f32_e32 v11, 0xbeedf032, v5
	v_fma_f32 v3, v102, v104, -v2
	v_mul_f32_e32 v2, v12, v4
	v_mul_f32_e32 v4, v7, v4
	;; [unrolled: 1-line block ×3, first 2 shown]
	v_add_f32_e32 v11, v11, v18
	v_mov_b32_e32 v18, v17
	v_fmac_f32_e32 v2, v7, v3
	v_fma_f32 v3, v12, v3, -v4
	v_mul_f32_e32 v4, v99, v101
	v_fmac_f32_e32 v6, v99, v100
	v_fmac_f32_e32 v18, 0x3f6f5d39, v5
	;; [unrolled: 1-line block ×4, first 2 shown]
	v_fma_f32 v5, v98, v100, -v4
	v_mul_f32_e32 v4, v11, v6
	v_fmac_f32_e32 v4, v8, v5
	v_mul_f32_e32 v6, v8, v6
	v_mul_f32_e32 v8, v94, v97
	v_fma_f32 v5, v11, v5, -v6
	v_mul_f32_e32 v6, v95, v97
	v_fmac_f32_e32 v8, v95, v96
	v_fma_f32 v7, v94, v96, -v6
	v_mul_f32_e32 v6, v14, v8
	v_mul_f32_e32 v8, v9, v8
	;; [unrolled: 1-line block ×3, first 2 shown]
	v_fmac_f32_e32 v6, v9, v7
	v_fma_f32 v7, v14, v7, -v8
	v_mul_f32_e32 v8, v91, v93
	v_fmac_f32_e32 v11, v91, v92
	v_fma_f32 v9, v90, v92, -v8
	v_mul_f32_e32 v8, v16, v11
	v_fmac_f32_e32 v8, v10, v9
	v_mul_f32_e32 v10, v10, v11
	v_mul_f32_e32 v12, v86, v89
	v_add_f32_e32 v13, v13, v28
	v_add_f32_e32 v18, v18, v31
	v_fma_f32 v9, v16, v9, -v10
	v_mul_f32_e32 v10, v87, v89
	v_fmac_f32_e32 v12, v87, v88
	v_fma_f32 v11, v86, v88, -v10
	v_mul_f32_e32 v10, v18, v12
	v_mul_f32_e32 v12, v13, v12
	;; [unrolled: 1-line block ×3, first 2 shown]
	v_add_f32_e32 v15, v15, v32
	v_add_f32_e32 v24, v24, v33
	v_fmac_f32_e32 v10, v13, v11
	v_fma_f32 v11, v18, v11, -v12
	v_mul_f32_e32 v12, v83, v85
	v_fmac_f32_e32 v14, v83, v84
	v_fma_f32 v13, v82, v84, -v12
	v_mul_f32_e32 v12, v24, v14
	v_mul_f32_e32 v14, v15, v14
	;; [unrolled: 1-line block ×3, first 2 shown]
	v_fmac_f32_e32 v12, v15, v13
	v_fma_f32 v13, v24, v13, -v14
	v_mul_f32_e32 v14, v79, v81
	v_fmac_f32_e32 v16, v79, v80
	v_fma_f32 v15, v78, v80, -v14
	v_mul_f32_e32 v14, v27, v16
	v_mul_f32_e32 v16, v26, v16
	;; [unrolled: 1-line block ×3, first 2 shown]
	v_add_f32_e32 v17, v17, v30
	v_fmac_f32_e32 v14, v26, v15
	v_fma_f32 v15, v27, v15, -v16
	v_mul_f32_e32 v16, v75, v77
	v_fmac_f32_e32 v24, v75, v76
	v_fma_f32 v18, v74, v76, -v16
	v_mul_f32_e32 v16, v17, v24
	v_fmac_f32_e32 v16, v23, v18
	v_mul_f32_e32 v23, v23, v24
	v_mul_f32_e32 v24, v70, v73
	v_fma_f32 v17, v17, v18, -v23
	v_mul_f32_e32 v18, v71, v73
	v_fmac_f32_e32 v24, v71, v72
	v_fma_f32 v23, v70, v72, -v18
	v_mul_f32_e32 v18, v20, v24
	v_fmac_f32_e32 v18, v19, v23
	v_mul_f32_e32 v19, v19, v24
	v_mul_f32_e32 v24, v66, v69
	;; [unrolled: 8-line block ×3, first 2 shown]
	v_fma_f32 v21, v21, v23, -v22
	v_mul_f32_e32 v22, v63, v65
	v_fmac_f32_e32 v24, v63, v64
	v_fma_f32 v23, v62, v64, -v22
	v_mul_f32_e32 v22, v37, v24
	v_mul_f32_e32 v24, v36, v24
	v_fmac_f32_e32 v22, v36, v23
	v_fma_f32 v23, v37, v23, -v24
	v_mul_f32_e32 v24, v55, v57
	v_fma_f32 v27, v54, v56, -v24
	v_mad_u64_u32 v[24:25], s[0:1], s8, v133, 0
	v_mul_f32_e32 v30, v54, v57
	v_fmac_f32_e32 v30, v55, v56
	v_mul_f32_e32 v26, v35, v30
	v_mad_u64_u32 v[28:29], s[0:1], s9, v133, v[25:26]
	v_mul_f32_e32 v25, v34, v30
	v_add_u32_e32 v30, 29, v132
	v_fmac_f32_e32 v26, v34, v27
	v_fma_f32 v27, v35, v27, -v25
	v_mov_b32_e32 v25, v28
	v_mad_u64_u32 v[28:29], s[0:1], s8, v30, 0
	v_add_u32_e32 v32, 45, v132
	v_lshlrev_b64 v[24:25], 3, v[24:25]
	v_mad_u64_u32 v[29:30], s[0:1], s9, v30, v[29:30]
	v_mad_u64_u32 v[30:31], s[0:1], s8, v32, 0
	v_add_co_u32_e32 v24, vcc, v52, v24
	v_addc_co_u32_e32 v25, vcc, v53, v25, vcc
	global_store_dwordx2 v[24:25], v[0:1], off
	v_mov_b32_e32 v24, v31
	v_mad_u64_u32 v[24:25], s[0:1], s9, v32, v[24:25]
	v_lshlrev_b64 v[0:1], 3, v[28:29]
	v_add_co_u32_e32 v0, vcc, v52, v0
	v_addc_co_u32_e32 v1, vcc, v53, v1, vcc
	v_mov_b32_e32 v31, v24
	v_add_u32_e32 v24, 61, v132
	global_store_dwordx2 v[0:1], v[2:3], off
	v_mad_u64_u32 v[2:3], s[0:1], s8, v24, 0
	v_lshlrev_b64 v[0:1], 3, v[30:31]
	v_mad_u64_u32 v[24:25], s[0:1], s9, v24, v[3:4]
	v_add_u32_e32 v25, 0x4d, v132
	v_mad_u64_u32 v[28:29], s[0:1], s8, v25, 0
	v_add_co_u32_e32 v0, vcc, v52, v0
	v_addc_co_u32_e32 v1, vcc, v53, v1, vcc
	v_mov_b32_e32 v3, v24
	global_store_dwordx2 v[0:1], v[4:5], off
	v_lshlrev_b64 v[0:1], 3, v[2:3]
	v_mov_b32_e32 v2, v29
	v_mad_u64_u32 v[2:3], s[0:1], s9, v25, v[2:3]
	v_add_u32_e32 v4, 0x5d, v132
	v_add_co_u32_e32 v0, vcc, v52, v0
	v_mov_b32_e32 v29, v2
	v_mad_u64_u32 v[2:3], s[0:1], s8, v4, 0
	v_addc_co_u32_e32 v1, vcc, v53, v1, vcc
	global_store_dwordx2 v[0:1], v[6:7], off
	v_mad_u64_u32 v[3:4], s[0:1], s9, v4, v[3:4]
	v_add_u32_e32 v6, 0x6d, v132
	v_lshlrev_b64 v[0:1], 3, v[28:29]
	v_mad_u64_u32 v[4:5], s[0:1], s8, v6, 0
	v_add_co_u32_e32 v0, vcc, v52, v0
	v_addc_co_u32_e32 v1, vcc, v53, v1, vcc
	global_store_dwordx2 v[0:1], v[8:9], off
	v_lshlrev_b64 v[0:1], 3, v[2:3]
	v_mov_b32_e32 v2, v5
	v_mad_u64_u32 v[2:3], s[0:1], s9, v6, v[2:3]
	v_add_co_u32_e32 v0, vcc, v52, v0
	v_addc_co_u32_e32 v1, vcc, v53, v1, vcc
	v_mov_b32_e32 v5, v2
	global_store_dwordx2 v[0:1], v[10:11], off
	v_lshlrev_b64 v[0:1], 3, v[4:5]
	v_add_u32_e32 v4, 0x7d, v132
	v_mad_u64_u32 v[2:3], s[0:1], s8, v4, 0
	v_add_u32_e32 v6, 0x8d, v132
	v_add_co_u32_e32 v0, vcc, v52, v0
	v_mad_u64_u32 v[3:4], s[0:1], s9, v4, v[3:4]
	v_mad_u64_u32 v[4:5], s[0:1], s8, v6, 0
	v_addc_co_u32_e32 v1, vcc, v53, v1, vcc
	global_store_dwordx2 v[0:1], v[12:13], off
	v_lshlrev_b64 v[0:1], 3, v[2:3]
	v_mov_b32_e32 v2, v5
	v_mad_u64_u32 v[2:3], s[0:1], s9, v6, v[2:3]
	v_add_co_u32_e32 v0, vcc, v52, v0
	v_addc_co_u32_e32 v1, vcc, v53, v1, vcc
	v_mov_b32_e32 v5, v2
	global_store_dwordx2 v[0:1], v[14:15], off
	v_lshlrev_b64 v[0:1], 3, v[4:5]
	v_add_u32_e32 v4, 0x9d, v132
	v_mad_u64_u32 v[2:3], s[0:1], s8, v4, 0
	v_add_u32_e32 v6, 0xad, v132
	v_add_co_u32_e32 v0, vcc, v52, v0
	v_mad_u64_u32 v[3:4], s[0:1], s9, v4, v[3:4]
	v_mad_u64_u32 v[4:5], s[0:1], s8, v6, 0
	;; [unrolled: 16-line block ×3, first 2 shown]
	v_addc_co_u32_e32 v1, vcc, v53, v1, vcc
	global_store_dwordx2 v[0:1], v[20:21], off
	v_lshlrev_b64 v[0:1], 3, v[2:3]
	v_mov_b32_e32 v2, v5
	v_mad_u64_u32 v[2:3], s[0:1], s9, v6, v[2:3]
	v_add_co_u32_e32 v0, vcc, v52, v0
	v_addc_co_u32_e32 v1, vcc, v53, v1, vcc
	v_mov_b32_e32 v5, v2
	global_store_dwordx2 v[0:1], v[22:23], off
	v_lshlrev_b64 v[0:1], 3, v[4:5]
	v_add_co_u32_e32 v0, vcc, v52, v0
	v_addc_co_u32_e32 v1, vcc, v53, v1, vcc
	global_store_dwordx2 v[0:1], v[26:27], off
	s_endpgm
	.section	.rodata,"a",@progbits
	.p2align	6, 0x0
	.amdhsa_kernel fft_rtc_back_len208_factors_2_2_4_13_wgs_247_tpt_13_dim3_sp_ip_CI_sbcc_twdbase8_2step_dirReg
		.amdhsa_group_segment_fixed_size 0
		.amdhsa_private_segment_fixed_size 0
		.amdhsa_kernarg_size 88
		.amdhsa_user_sgpr_count 6
		.amdhsa_user_sgpr_private_segment_buffer 1
		.amdhsa_user_sgpr_dispatch_ptr 0
		.amdhsa_user_sgpr_queue_ptr 0
		.amdhsa_user_sgpr_kernarg_segment_ptr 1
		.amdhsa_user_sgpr_dispatch_id 0
		.amdhsa_user_sgpr_flat_scratch_init 0
		.amdhsa_user_sgpr_private_segment_size 0
		.amdhsa_uses_dynamic_stack 0
		.amdhsa_system_sgpr_private_segment_wavefront_offset 0
		.amdhsa_system_sgpr_workgroup_id_x 1
		.amdhsa_system_sgpr_workgroup_id_y 0
		.amdhsa_system_sgpr_workgroup_id_z 0
		.amdhsa_system_sgpr_workgroup_info 0
		.amdhsa_system_vgpr_workitem_id 0
		.amdhsa_next_free_vgpr 186
		.amdhsa_next_free_sgpr 26
		.amdhsa_reserve_vcc 1
		.amdhsa_reserve_flat_scratch 0
		.amdhsa_float_round_mode_32 0
		.amdhsa_float_round_mode_16_64 0
		.amdhsa_float_denorm_mode_32 3
		.amdhsa_float_denorm_mode_16_64 3
		.amdhsa_dx10_clamp 1
		.amdhsa_ieee_mode 1
		.amdhsa_fp16_overflow 0
		.amdhsa_exception_fp_ieee_invalid_op 0
		.amdhsa_exception_fp_denorm_src 0
		.amdhsa_exception_fp_ieee_div_zero 0
		.amdhsa_exception_fp_ieee_overflow 0
		.amdhsa_exception_fp_ieee_underflow 0
		.amdhsa_exception_fp_ieee_inexact 0
		.amdhsa_exception_int_div_zero 0
	.end_amdhsa_kernel
	.text
.Lfunc_end0:
	.size	fft_rtc_back_len208_factors_2_2_4_13_wgs_247_tpt_13_dim3_sp_ip_CI_sbcc_twdbase8_2step_dirReg, .Lfunc_end0-fft_rtc_back_len208_factors_2_2_4_13_wgs_247_tpt_13_dim3_sp_ip_CI_sbcc_twdbase8_2step_dirReg
                                        ; -- End function
	.section	.AMDGPU.csdata,"",@progbits
; Kernel info:
; codeLenInByte = 16020
; NumSgprs: 30
; NumVgprs: 186
; ScratchSize: 0
; MemoryBound: 0
; FloatMode: 240
; IeeeMode: 1
; LDSByteSize: 0 bytes/workgroup (compile time only)
; SGPRBlocks: 3
; VGPRBlocks: 46
; NumSGPRsForWavesPerEU: 30
; NumVGPRsForWavesPerEU: 186
; Occupancy: 1
; WaveLimiterHint : 1
; COMPUTE_PGM_RSRC2:SCRATCH_EN: 0
; COMPUTE_PGM_RSRC2:USER_SGPR: 6
; COMPUTE_PGM_RSRC2:TRAP_HANDLER: 0
; COMPUTE_PGM_RSRC2:TGID_X_EN: 1
; COMPUTE_PGM_RSRC2:TGID_Y_EN: 0
; COMPUTE_PGM_RSRC2:TGID_Z_EN: 0
; COMPUTE_PGM_RSRC2:TIDIG_COMP_CNT: 0
	.type	__hip_cuid_4281386a7a4af3d8,@object ; @__hip_cuid_4281386a7a4af3d8
	.section	.bss,"aw",@nobits
	.globl	__hip_cuid_4281386a7a4af3d8
__hip_cuid_4281386a7a4af3d8:
	.byte	0                               ; 0x0
	.size	__hip_cuid_4281386a7a4af3d8, 1

	.ident	"AMD clang version 19.0.0git (https://github.com/RadeonOpenCompute/llvm-project roc-6.4.0 25133 c7fe45cf4b819c5991fe208aaa96edf142730f1d)"
	.section	".note.GNU-stack","",@progbits
	.addrsig
	.addrsig_sym __hip_cuid_4281386a7a4af3d8
	.amdgpu_metadata
---
amdhsa.kernels:
  - .args:
      - .actual_access:  read_only
        .address_space:  global
        .offset:         0
        .size:           8
        .value_kind:     global_buffer
      - .address_space:  global
        .offset:         8
        .size:           8
        .value_kind:     global_buffer
      - .actual_access:  read_only
        .address_space:  global
        .offset:         16
        .size:           8
        .value_kind:     global_buffer
      - .actual_access:  read_only
        .address_space:  global
        .offset:         24
        .size:           8
        .value_kind:     global_buffer
      - .offset:         32
        .size:           8
        .value_kind:     by_value
      - .actual_access:  read_only
        .address_space:  global
        .offset:         40
        .size:           8
        .value_kind:     global_buffer
      - .actual_access:  read_only
        .address_space:  global
        .offset:         48
        .size:           8
        .value_kind:     global_buffer
      - .offset:         56
        .size:           4
        .value_kind:     by_value
      - .actual_access:  read_only
        .address_space:  global
        .offset:         64
        .size:           8
        .value_kind:     global_buffer
      - .actual_access:  read_only
        .address_space:  global
        .offset:         72
        .size:           8
        .value_kind:     global_buffer
      - .address_space:  global
        .offset:         80
        .size:           8
        .value_kind:     global_buffer
    .group_segment_fixed_size: 0
    .kernarg_segment_align: 8
    .kernarg_segment_size: 88
    .language:       OpenCL C
    .language_version:
      - 2
      - 0
    .max_flat_workgroup_size: 247
    .name:           fft_rtc_back_len208_factors_2_2_4_13_wgs_247_tpt_13_dim3_sp_ip_CI_sbcc_twdbase8_2step_dirReg
    .private_segment_fixed_size: 0
    .sgpr_count:     30
    .sgpr_spill_count: 0
    .symbol:         fft_rtc_back_len208_factors_2_2_4_13_wgs_247_tpt_13_dim3_sp_ip_CI_sbcc_twdbase8_2step_dirReg.kd
    .uniform_work_group_size: 1
    .uses_dynamic_stack: false
    .vgpr_count:     186
    .vgpr_spill_count: 0
    .wavefront_size: 64
amdhsa.target:   amdgcn-amd-amdhsa--gfx906
amdhsa.version:
  - 1
  - 2
...

	.end_amdgpu_metadata
